;; amdgpu-corpus repo=ROCm/rocFFT kind=compiled arch=gfx1030 opt=O3
	.text
	.amdgcn_target "amdgcn-amd-amdhsa--gfx1030"
	.amdhsa_code_object_version 6
	.protected	bluestein_single_fwd_len864_dim1_half_op_CI_CI ; -- Begin function bluestein_single_fwd_len864_dim1_half_op_CI_CI
	.globl	bluestein_single_fwd_len864_dim1_half_op_CI_CI
	.p2align	8
	.type	bluestein_single_fwd_len864_dim1_half_op_CI_CI,@function
bluestein_single_fwd_len864_dim1_half_op_CI_CI: ; @bluestein_single_fwd_len864_dim1_half_op_CI_CI
; %bb.0:
	s_load_dwordx4 s[12:15], s[4:5], 0x28
	v_mul_u32_u24_e32 v1, 0x4be, v0
	v_mov_b32_e32 v32, 0
	s_mov_b32 s0, exec_lo
	v_lshrrev_b32_e32 v1, 16, v1
	v_add_nc_u32_e32 v31, s6, v1
	s_waitcnt lgkmcnt(0)
	v_cmpx_gt_u64_e64 s[12:13], v[31:32]
	s_cbranch_execz .LBB0_31
; %bb.1:
	s_clause 0x1
	s_load_dwordx4 s[0:3], s[4:5], 0x18
	s_load_dwordx2 s[12:13], s[4:5], 0x0
	v_mul_lo_u16 v1, v1, 54
	v_sub_nc_u16 v9, v0, v1
	v_and_b32_e32 v77, 0xffff, v9
	v_or_b32_e32 v73, 0x240, v77
	v_lshlrev_b32_e32 v62, 2, v77
	s_waitcnt lgkmcnt(0)
	s_load_dwordx4 s[8:11], s[0:1], 0x0
	s_clause 0x1
	global_load_dword v78, v62, s[12:13]
	global_load_dword v75, v62, s[12:13] offset:216
	v_add_co_u32 v29, s0, s12, v62
	v_add_co_ci_u32_e64 v30, null, s13, 0, s0
	s_clause 0x1
	global_load_dword v79, v62, s[12:13] offset:1152
	global_load_dword v74, v62, s[12:13] offset:1368
	v_lshlrev_b32_e32 v58, 2, v73
	global_load_dword v76, v58, s[12:13]
	s_waitcnt lgkmcnt(0)
	v_mad_u64_u32 v[0:1], null, s10, v31, 0
	v_mad_u64_u32 v[2:3], null, s8, v77, 0
	s_mul_i32 s1, s9, 0x120
	s_mul_hi_u32 s6, s8, 0x120
	s_mul_i32 s0, s8, 0x120
	s_add_i32 s1, s6, s1
	s_mul_i32 s6, s9, 0xfffffdf6
	s_lshl_b64 s[16:17], s[0:1], 2
	v_mad_u64_u32 v[4:5], null, s11, v31, v[1:2]
	v_mad_u64_u32 v[5:6], null, s8, v73, 0
	s_mul_i32 s0, s9, 0xfffffc58
	s_mul_hi_u32 s1, s8, 0xfffffdf6
	s_sub_i32 s0, s0, s8
	s_sub_i32 s1, s1, s8
	v_mad_u64_u32 v[7:8], null, s9, v77, v[3:4]
	v_mov_b32_e32 v1, v4
	v_mov_b32_e32 v4, v6
	s_add_i32 s1, s1, s6
	s_load_dwordx2 s[6:7], s[4:5], 0x38
	v_lshlrev_b64 v[0:1], 2, v[0:1]
	v_mov_b32_e32 v3, v7
	v_mad_u64_u32 v[6:7], null, s9, v73, v[4:5]
	v_lshlrev_b64 v[2:3], 2, v[2:3]
	v_add_co_u32 v7, vcc_lo, s14, v0
	v_add_co_ci_u32_e32 v8, vcc_lo, s15, v1, vcc_lo
	v_add_co_u32 v0, vcc_lo, v7, v2
	v_add_co_ci_u32_e32 v1, vcc_lo, v8, v3, vcc_lo
	v_lshlrev_b64 v[2:3], 2, v[5:6]
	v_add_co_u32 v4, vcc_lo, v0, s16
	v_add_co_ci_u32_e32 v5, vcc_lo, s17, v1, vcc_lo
	global_load_dword v6, v[0:1], off
	v_add_co_u32 v2, vcc_lo, v7, v2
	v_mad_u64_u32 v[0:1], null, 0xfffffc58, s8, v[4:5]
	v_add_co_ci_u32_e32 v3, vcc_lo, v8, v3, vcc_lo
	s_clause 0x1
	global_load_dword v5, v[4:5], off
	global_load_dword v7, v[2:3], off
	v_add_co_u32 v27, vcc_lo, 0x800, v29
	v_add_nc_u32_e32 v1, s0, v1
	v_add_co_ci_u32_e32 v28, vcc_lo, 0, v30, vcc_lo
	s_mul_i32 s0, s8, 0xfffffdf6
	v_add_nc_u32_e32 v4, 0x400, v62
	global_load_dword v8, v[0:1], off
	v_add_co_u32 v0, vcc_lo, v0, s16
	v_add_co_ci_u32_e32 v1, vcc_lo, s17, v1, vcc_lo
	s_lshl_b64 s[0:1], s[0:1], 2
	v_add_co_u32 v2, vcc_lo, v0, s16
	v_add_co_ci_u32_e32 v3, vcc_lo, s17, v1, vcc_lo
	global_load_dword v10, v[0:1], off
	v_add_co_u32 v0, vcc_lo, v2, s0
	v_add_co_ci_u32_e32 v1, vcc_lo, s1, v3, vcc_lo
	global_load_dword v11, v[2:3], off
	s_clause 0x1
	global_load_dword v72, v[27:28], off offset:472
	global_load_dword v71, v62, s[12:13] offset:432
	global_load_dword v12, v[0:1], off
	v_add_co_u32 v0, vcc_lo, v0, s16
	v_add_co_ci_u32_e32 v1, vcc_lo, s17, v1, vcc_lo
	global_load_dword v70, v62, s[12:13] offset:1584
	v_add_co_u32 v2, vcc_lo, v0, s16
	v_add_co_ci_u32_e32 v3, vcc_lo, s17, v1, vcc_lo
	global_load_dword v13, v[0:1], off
	v_add_co_u32 v0, vcc_lo, v2, s0
	v_add_co_ci_u32_e32 v1, vcc_lo, s1, v3, vcc_lo
	global_load_dword v68, v62, s[12:13] offset:648
	global_load_dword v14, v[2:3], off
	s_clause 0x1
	global_load_dword v67, v62, s[12:13] offset:1800
	global_load_dword v69, v[27:28], off offset:688
	global_load_dword v15, v[0:1], off
	v_add_co_u32 v0, vcc_lo, v0, s16
	v_add_co_ci_u32_e32 v1, vcc_lo, s17, v1, vcc_lo
	global_load_dword v66, v[27:28], off offset:904
	v_add_co_u32 v2, vcc_lo, v0, s16
	v_add_co_ci_u32_e32 v3, vcc_lo, s17, v1, vcc_lo
	global_load_dword v16, v[0:1], off
	v_add_co_u32 v0, vcc_lo, v2, s0
	v_add_co_ci_u32_e32 v1, vcc_lo, s1, v3, vcc_lo
	global_load_dword v17, v[2:3], off
	;; [unrolled: 3-line block ×3, first 2 shown]
	v_add_co_u32 v0, vcc_lo, v2, s16
	v_add_co_ci_u32_e32 v1, vcc_lo, s17, v3, vcc_lo
	global_load_dword v65, v62, s[12:13] offset:864
	global_load_dword v3, v[2:3], off
	global_load_dword v19, v[0:1], off
	s_clause 0x1
	global_load_dword v64, v62, s[12:13] offset:2016
	global_load_dword v63, v[27:28], off offset:1120
	s_load_dwordx4 s[8:11], s[2:3], 0x0
	v_add_nc_u32_e32 v2, 0x800, v62
	v_cmp_gt_u16_e32 vcc_lo, 18, v9
	s_waitcnt vmcnt(24)
	v_lshrrev_b32_e32 v20, 16, v6
	v_mul_f16_sdwa v21, v78, v6 dst_sel:DWORD dst_unused:UNUSED_PAD src0_sel:WORD_1 src1_sel:DWORD
	v_mul_f16_sdwa v22, v78, v20 dst_sel:DWORD dst_unused:UNUSED_PAD src0_sel:WORD_1 src1_sel:DWORD
	v_fma_f16 v20, v78, v20, -v21
	s_waitcnt vmcnt(23)
	v_lshrrev_b32_e32 v23, 16, v5
	s_waitcnt vmcnt(22)
	v_lshrrev_b32_e32 v24, 16, v7
	v_mul_f16_sdwa v21, v79, v5 dst_sel:DWORD dst_unused:UNUSED_PAD src0_sel:WORD_1 src1_sel:DWORD
	v_mul_f16_sdwa v25, v76, v7 dst_sel:DWORD dst_unused:UNUSED_PAD src0_sel:WORD_1 src1_sel:DWORD
	v_fmac_f16_e32 v22, v78, v6
	v_mul_f16_sdwa v26, v79, v23 dst_sel:DWORD dst_unused:UNUSED_PAD src0_sel:WORD_1 src1_sel:DWORD
	v_mul_f16_sdwa v32, v76, v24 dst_sel:DWORD dst_unused:UNUSED_PAD src0_sel:WORD_1 src1_sel:DWORD
	v_fma_f16 v6, v79, v23, -v21
	v_fma_f16 v21, v76, v24, -v25
	v_pack_b32_f16 v20, v22, v20
	v_fmac_f16_e32 v26, v79, v5
	v_fmac_f16_e32 v32, v76, v7
	s_waitcnt vmcnt(21)
	v_lshrrev_b32_e32 v5, 16, v8
	v_mul_f16_sdwa v7, v75, v8 dst_sel:DWORD dst_unused:UNUSED_PAD src0_sel:WORD_1 src1_sel:DWORD
	v_pack_b32_f16 v6, v26, v6
	v_pack_b32_f16 v21, v32, v21
	v_mul_f16_sdwa v22, v75, v5 dst_sel:DWORD dst_unused:UNUSED_PAD src0_sel:WORD_1 src1_sel:DWORD
	v_fma_f16 v5, v75, v5, -v7
	s_waitcnt vmcnt(20)
	v_lshrrev_b32_e32 v7, 16, v10
	v_mul_f16_sdwa v23, v74, v10 dst_sel:DWORD dst_unused:UNUSED_PAD src0_sel:WORD_1 src1_sel:DWORD
	ds_write_b32 v62, v6 offset:1152
	ds_write_b32 v62, v21 offset:2304
	v_fmac_f16_e32 v22, v75, v8
	s_waitcnt vmcnt(19)
	v_lshrrev_b32_e32 v8, 16, v11
	v_mul_f16_sdwa v6, v74, v7 dst_sel:DWORD dst_unused:UNUSED_PAD src0_sel:WORD_1 src1_sel:DWORD
	s_waitcnt vmcnt(18)
	v_mul_f16_sdwa v21, v72, v11 dst_sel:DWORD dst_unused:UNUSED_PAD src0_sel:WORD_1 src1_sel:DWORD
	v_fma_f16 v7, v74, v7, -v23
	v_pack_b32_f16 v5, v22, v5
	s_waitcnt vmcnt(16)
	v_mul_f16_sdwa v22, v71, v12 dst_sel:DWORD dst_unused:UNUSED_PAD src0_sel:WORD_1 src1_sel:DWORD
	v_fmac_f16_e32 v6, v74, v10
	v_mul_f16_sdwa v10, v72, v8 dst_sel:DWORD dst_unused:UNUSED_PAD src0_sel:WORD_1 src1_sel:DWORD
	v_fma_f16 v8, v72, v8, -v21
	v_lshrrev_b32_e32 v21, 16, v12
	ds_write2_b32 v62, v20, v5 offset1:54
	v_pack_b32_f16 v5, v6, v7
	v_fmac_f16_e32 v10, v72, v11
	s_waitcnt vmcnt(14)
	v_lshrrev_b32_e32 v7, 16, v13
	v_mul_f16_sdwa v6, v71, v21 dst_sel:DWORD dst_unused:UNUSED_PAD src0_sel:WORD_1 src1_sel:DWORD
	v_fma_f16 v11, v71, v21, -v22
	v_mul_f16_sdwa v20, v70, v13 dst_sel:DWORD dst_unused:UNUSED_PAD src0_sel:WORD_1 src1_sel:DWORD
	v_pack_b32_f16 v8, v10, v8
	v_mul_f16_sdwa v10, v70, v7 dst_sel:DWORD dst_unused:UNUSED_PAD src0_sel:WORD_1 src1_sel:DWORD
	v_fmac_f16_e32 v6, v71, v12
	s_waitcnt vmcnt(12)
	v_lshrrev_b32_e32 v12, 16, v14
	v_fma_f16 v7, v70, v7, -v20
	s_waitcnt vmcnt(10)
	v_mul_f16_sdwa v20, v69, v14 dst_sel:DWORD dst_unused:UNUSED_PAD src0_sel:WORD_1 src1_sel:DWORD
	v_fmac_f16_e32 v10, v70, v13
	v_pack_b32_f16 v6, v6, v11
	v_mul_f16_sdwa v11, v69, v12 dst_sel:DWORD dst_unused:UNUSED_PAD src0_sel:WORD_1 src1_sel:DWORD
	s_waitcnt vmcnt(9)
	v_lshrrev_b32_e32 v13, 16, v15
	v_mul_f16_sdwa v21, v68, v15 dst_sel:DWORD dst_unused:UNUSED_PAD src0_sel:WORD_1 src1_sel:DWORD
	v_fma_f16 v12, v69, v12, -v20
	v_pack_b32_f16 v7, v10, v7
	v_fmac_f16_e32 v11, v69, v14
	v_mul_f16_sdwa v10, v68, v13 dst_sel:DWORD dst_unused:UNUSED_PAD src0_sel:WORD_1 src1_sel:DWORD
	s_waitcnt vmcnt(7)
	v_lshrrev_b32_e32 v14, 16, v16
	v_mul_f16_sdwa v20, v67, v16 dst_sel:DWORD dst_unused:UNUSED_PAD src0_sel:WORD_1 src1_sel:DWORD
	v_fma_f16 v13, v68, v13, -v21
	ds_write2_b32 v4, v5, v7 offset0:86 offset1:140
	v_pack_b32_f16 v5, v11, v12
	v_fmac_f16_e32 v10, v68, v15
	v_mul_f16_sdwa v7, v67, v14 dst_sel:DWORD dst_unused:UNUSED_PAD src0_sel:WORD_1 src1_sel:DWORD
	s_waitcnt vmcnt(6)
	v_lshrrev_b32_e32 v11, 16, v17
	v_fma_f16 v12, v67, v14, -v20
	v_mul_f16_sdwa v14, v66, v17 dst_sel:DWORD dst_unused:UNUSED_PAD src0_sel:WORD_1 src1_sel:DWORD
	ds_write2_b32 v2, v8, v5 offset0:118 offset1:172
	v_pack_b32_f16 v5, v10, v13
	s_waitcnt vmcnt(5)
	v_lshrrev_b32_e32 v10, 16, v18
	v_mul_f16_sdwa v8, v66, v11 dst_sel:DWORD dst_unused:UNUSED_PAD src0_sel:WORD_1 src1_sel:DWORD
	v_fma_f16 v11, v66, v11, -v14
	s_waitcnt vmcnt(4)
	v_mul_f16_sdwa v13, v65, v18 dst_sel:DWORD dst_unused:UNUSED_PAD src0_sel:WORD_1 src1_sel:DWORD
	s_waitcnt vmcnt(3)
	v_lshrrev_b32_e32 v14, 16, v3
	v_fmac_f16_e32 v7, v67, v16
	s_waitcnt vmcnt(2)
	v_lshrrev_b32_e32 v16, 16, v19
	v_mul_f16_sdwa v15, v65, v10 dst_sel:DWORD dst_unused:UNUSED_PAD src0_sel:WORD_1 src1_sel:DWORD
	v_fmac_f16_e32 v8, v66, v17
	v_fma_f16 v10, v65, v10, -v13
	s_waitcnt vmcnt(1)
	v_mul_f16_sdwa v13, v64, v3 dst_sel:DWORD dst_unused:UNUSED_PAD src0_sel:WORD_1 src1_sel:DWORD
	v_mul_f16_sdwa v17, v64, v14 dst_sel:DWORD dst_unused:UNUSED_PAD src0_sel:WORD_1 src1_sel:DWORD
	s_waitcnt vmcnt(0)
	v_mul_f16_sdwa v20, v63, v19 dst_sel:DWORD dst_unused:UNUSED_PAD src0_sel:WORD_1 src1_sel:DWORD
	v_mul_f16_sdwa v21, v63, v16 dst_sel:DWORD dst_unused:UNUSED_PAD src0_sel:WORD_1 src1_sel:DWORD
	v_fmac_f16_e32 v15, v65, v18
	v_fma_f16 v13, v64, v14, -v13
	v_fmac_f16_e32 v17, v64, v3
	v_fma_f16 v3, v63, v16, -v20
	v_fmac_f16_e32 v21, v63, v19
	v_pack_b32_f16 v10, v15, v10
	v_pack_b32_f16 v7, v7, v12
	;; [unrolled: 1-line block ×5, first 2 shown]
	v_add_nc_u32_e32 v12, 0xa00, v62
	ds_write2_b32 v62, v6, v5 offset0:108 offset1:162
	ds_write_b32 v62, v10 offset:864
	ds_write2_b32 v4, v7, v11 offset0:194 offset1:248
	ds_write2_b32 v12, v8, v3 offset0:98 offset1:152
	s_and_saveexec_b32 s2, vcc_lo
	s_cbranch_execz .LBB0_3
; %bb.2:
	v_add_co_u32 v0, s0, v0, s0
	v_add_co_ci_u32_e64 v1, s0, s1, v1, s0
	v_add_co_u32 v5, s0, v0, s16
	v_add_co_ci_u32_e64 v6, s0, s17, v1, s0
	;; [unrolled: 2-line block ×3, first 2 shown]
	global_load_dword v0, v[0:1], off
	global_load_dword v1, v[29:30], off offset:1080
	global_load_dword v3, v[5:6], off
	global_load_dword v5, v[7:8], off
	s_clause 0x1
	global_load_dword v6, v[27:28], off offset:184
	global_load_dword v7, v[27:28], off offset:1336
	s_waitcnt vmcnt(5)
	v_lshrrev_b32_e32 v8, 16, v0
	s_waitcnt vmcnt(4)
	v_mul_f16_sdwa v9, v1, v0 dst_sel:DWORD dst_unused:UNUSED_PAD src0_sel:WORD_1 src1_sel:DWORD
	s_waitcnt vmcnt(3)
	v_lshrrev_b32_e32 v10, 16, v3
	s_waitcnt vmcnt(2)
	v_lshrrev_b32_e32 v11, 16, v5
	v_mul_f16_sdwa v12, v1, v8 dst_sel:DWORD dst_unused:UNUSED_PAD src0_sel:WORD_1 src1_sel:DWORD
	v_fma_f16 v8, v1, v8, -v9
	s_waitcnt vmcnt(1)
	v_mul_f16_sdwa v9, v6, v3 dst_sel:DWORD dst_unused:UNUSED_PAD src0_sel:WORD_1 src1_sel:DWORD
	v_mul_f16_sdwa v13, v6, v10 dst_sel:DWORD dst_unused:UNUSED_PAD src0_sel:WORD_1 src1_sel:DWORD
	s_waitcnt vmcnt(0)
	v_mul_f16_sdwa v14, v7, v11 dst_sel:DWORD dst_unused:UNUSED_PAD src0_sel:WORD_1 src1_sel:DWORD
	v_mul_f16_sdwa v15, v7, v5 dst_sel:DWORD dst_unused:UNUSED_PAD src0_sel:WORD_1 src1_sel:DWORD
	v_fmac_f16_e32 v12, v1, v0
	v_fma_f16 v0, v6, v10, -v9
	v_fmac_f16_e32 v13, v6, v3
	v_fmac_f16_e32 v14, v7, v5
	v_fma_f16 v1, v7, v11, -v15
	v_pack_b32_f16 v3, v12, v8
	v_pack_b32_f16 v0, v13, v0
	;; [unrolled: 1-line block ×3, first 2 shown]
	ds_write_b32 v62, v3 offset:1080
	ds_write_b32 v62, v0 offset:2232
	;; [unrolled: 1-line block ×3, first 2 shown]
.LBB0_3:
	s_or_b32 exec_lo, exec_lo, s2
	v_add_nc_u32_e32 v0, 0x200, v62
	s_waitcnt lgkmcnt(0)
	s_barrier
	buffer_gl0_inv
	ds_read2_b32 v[14:15], v62 offset1:54
	ds_read2_b32 v[16:17], v0 offset0:88 offset1:160
	ds_read2_b32 v[10:11], v2 offset0:64 offset1:118
	;; [unrolled: 1-line block ×6, first 2 shown]
	ds_read_b32 v0, v62 offset:3168
                                        ; implicit-def: $vgpr4
                                        ; implicit-def: $vgpr1
                                        ; implicit-def: $vgpr7
	s_and_saveexec_b32 s0, vcc_lo
	s_cbranch_execz .LBB0_5
; %bb.4:
	ds_read_b32 v7, v62 offset:1080
	ds_read_b32 v1, v62 offset:2232
	;; [unrolled: 1-line block ×3, first 2 shown]
.LBB0_5:
	s_or_b32 exec_lo, exec_lo, s0
	s_waitcnt lgkmcnt(0)
	v_pk_add_f16 v22, v9, v0
	v_pk_add_f16 v23, v9, v0 neg_lo:[0,1] neg_hi:[0,1]
	v_pk_add_f16 v20, v1, v4
	v_pk_add_f16 v9, v16, v9
	v_pk_add_f16 v24, v1, v4 neg_lo:[0,1] neg_hi:[0,1]
	v_pk_fma_f16 v16, v22, 0.5, v16 op_sel_hi:[1,0,1] neg_lo:[1,0,0] neg_hi:[1,0,0]
	v_pk_mul_f16 v22, 0x3aee, v23 op_sel_hi:[0,1]
	v_pk_fma_f16 v20, v20, 0.5, v7 op_sel_hi:[1,0,1] neg_lo:[1,0,0] neg_hi:[1,0,0]
	v_pk_add_f16 v7, v1, v7
	v_pk_add_f16 v0, v9, v0
	;; [unrolled: 1-line block ×3, first 2 shown]
	v_pk_add_f16 v1, v16, v22 op_sel:[0,1] op_sel_hi:[1,0]
	v_pk_add_f16 v40, v16, v22 op_sel:[0,1] op_sel_hi:[1,0] neg_lo:[0,1] neg_hi:[0,1]
	v_pk_add_f16 v16, v17, v10 neg_lo:[0,1] neg_hi:[0,1]
	v_add_co_u32 v39, s0, v77, 54
	v_add_co_ci_u32_e64 v18, null, 0, 0, s0
	v_pk_add_f16 v18, v14, v17
	v_pk_add_f16 v19, v15, v12
	v_pk_fma_f16 v26, 0x3aee, v24, v20 op_sel:[0,0,1] op_sel_hi:[0,1,0]
	v_pk_fma_f16 v41, 0x3aee, v24, v20 op_sel:[0,0,1] op_sel_hi:[0,1,0] neg_lo:[0,1,0] neg_hi:[0,1,0]
	v_mul_lo_u16 v17, v77, 3
	v_mov_b32_e32 v20, 2
	v_pk_fma_f16 v9, v9, 0.5, v14 op_sel_hi:[1,0,1] neg_lo:[1,0,0] neg_hi:[1,0,0]
	v_pk_mul_f16 v14, 0x3aee, v16 op_sel_hi:[0,1]
	v_pk_add_f16 v16, v12, v11
	v_pk_add_f16 v12, v12, v11 neg_lo:[0,1] neg_hi:[0,1]
	v_lshlrev_b32_sdwa v81, v20, v17 dst_sel:DWORD dst_unused:UNUSED_PAD src0_sel:DWORD src1_sel:WORD_0
	v_pk_add_f16 v21, v5, v13
	v_pk_add_f16 v17, v9, v14 op_sel:[0,1] op_sel_hi:[1,0]
	v_pk_add_f16 v9, v9, v14 op_sel:[0,1] op_sel_hi:[1,0] neg_lo:[0,1] neg_hi:[0,1]
	v_pk_fma_f16 v14, v16, 0.5, v15 op_sel_hi:[1,0,1] neg_lo:[1,0,0] neg_hi:[1,0,0]
	v_pk_mul_f16 v12, 0x3aee, v12 op_sel_hi:[0,1]
	v_pk_add_f16 v10, v18, v10
	v_mul_u32_u24_e32 v15, 3, v39
	v_bfi_b32 v16, 0xffff, v17, v9
	v_bfi_b32 v9, 0xffff, v9, v17
	v_pk_add_f16 v17, v14, v12 op_sel:[0,1] op_sel_hi:[1,0]
	v_pk_add_f16 v12, v14, v12 op_sel:[0,1] op_sel_hi:[1,0] neg_lo:[0,1] neg_hi:[0,1]
	v_pk_add_f16 v14, v13, v2
	v_pk_add_f16 v13, v13, v2 neg_lo:[0,1] neg_hi:[0,1]
	v_add_co_u32 v38, null, 0x6c, v77
	s_barrier
	buffer_gl0_inv
	ds_write2_b32 v81, v10, v16 offset1:1
	v_pk_fma_f16 v5, v14, 0.5, v5 op_sel_hi:[1,0,1] neg_lo:[1,0,0] neg_hi:[1,0,0]
	v_pk_mul_f16 v10, 0x3aee, v13 op_sel_hi:[0,1]
	v_lshlrev_b32_e32 v80, 2, v15
	v_pk_add_f16 v11, v19, v11
	v_bfi_b32 v15, 0xffff, v17, v12
	v_pk_add_f16 v23, v6, v8
	ds_write_b32 v81, v9 offset:8
	ds_write2_b32 v80, v11, v15 offset1:1
	v_bfi_b32 v9, 0xffff, v12, v17
	v_mul_u32_u24_e32 v11, 3, v38
	v_pk_add_f16 v12, v5, v10 op_sel:[0,1] op_sel_hi:[1,0]
	v_pk_add_f16 v5, v5, v10 op_sel:[0,1] op_sel_hi:[1,0] neg_lo:[0,1] neg_hi:[0,1]
	v_pk_add_f16 v10, v8, v3
	v_pk_add_f16 v8, v8, v3 neg_lo:[0,1] neg_hi:[0,1]
	v_add_co_u32 v37, null, 0xa2, v77
	v_add_co_u32 v36, null, 0xd8, v77
	v_lshlrev_b32_e32 v83, 2, v11
	v_pk_add_f16 v2, v21, v2
	v_bfi_b32 v11, 0xffff, v12, v5
	v_pk_fma_f16 v6, v10, 0.5, v6 op_sel_hi:[1,0,1] neg_lo:[1,0,0] neg_hi:[1,0,0]
	v_pk_mul_f16 v8, 0x3aee, v8 op_sel_hi:[0,1]
	v_bfi_b32 v5, 0xffff, v5, v12
	v_add_co_u32 v59, s0, 0x10e, v77
	ds_write_b32 v80, v9 offset:8
	ds_write2_b32 v83, v2, v11 offset1:1
	v_mul_u32_u24_e32 v2, 3, v37
	v_pk_add_f16 v9, v6, v8 op_sel:[0,1] op_sel_hi:[1,0]
	v_pk_add_f16 v6, v6, v8 op_sel:[0,1] op_sel_hi:[1,0] neg_lo:[0,1] neg_hi:[0,1]
	ds_write_b32 v83, v5 offset:8
	v_mul_u32_u24_e32 v5, 3, v36
	v_add_co_ci_u32_e64 v60, null, 0, 0, s0
	v_pk_add_f16 v7, v4, v7
	v_lshrrev_b32_e32 v4, 16, v26
	v_lshlrev_b32_e32 v85, 2, v2
	v_pk_add_f16 v2, v23, v3
	v_bfi_b32 v3, 0xffff, v9, v6
	v_lshlrev_b32_e32 v87, 2, v5
	v_mul_u32_u24_e32 v86, 3, v59
	v_bfi_b32 v6, 0xffff, v6, v9
	v_bfi_b32 v5, 0xffff, v40, v1
	v_bfi_b32 v8, 0xffff, v1, v40
	ds_write2_b32 v85, v2, v3 offset1:1
	ds_write_b32 v85, v6 offset:8
	ds_write_b32 v87, v0
	ds_write2_b32 v87, v8, v5 offset0:1 offset1:2
	s_and_saveexec_b32 s0, vcc_lo
	s_cbranch_execz .LBB0_7
; %bb.6:
	v_lshlrev_b32_e32 v2, 2, v86
	v_perm_b32 v3, v41, v4, 0x5040100
	v_alignbit_b32 v5, v26, v41, 16
	ds_write_b32 v2, v7
	ds_write2_b32 v2, v3, v5 offset0:1 offset1:2
.LBB0_7:
	s_or_b32 exec_lo, exec_lo, s0
	v_add_nc_u32_e32 v6, 0x400, v62
	v_add_nc_u32_e32 v8, 0x800, v62
	;; [unrolled: 1-line block ×3, first 2 shown]
	s_waitcnt lgkmcnt(0)
	s_barrier
	buffer_gl0_inv
	ds_read2_b32 v[2:3], v62 offset1:54
	ds_read2_b32 v[34:35], v62 offset0:144 offset1:198
	ds_read2_b32 v[32:33], v6 offset0:32 offset1:86
	;; [unrolled: 1-line block ×5, first 2 shown]
	s_load_dwordx2 s[2:3], s[4:5], 0x8
	v_lshrrev_b32_e32 v42, 16, v1
	v_cmp_gt_u16_e64 s0, 36, v77
	s_and_saveexec_b32 s1, s0
	s_cbranch_execz .LBB0_9
; %bb.8:
	v_add_nc_u32_e32 v0, 0x600, v62
	ds_read2_b32 v[4:5], v5 offset0:44 offset1:188
	ds_read2_b32 v[6:7], v0 offset0:12 offset1:156
	;; [unrolled: 1-line block ×3, first 2 shown]
	s_waitcnt lgkmcnt(0)
	v_lshrrev_b32_e32 v26, 16, v5
	v_alignbit_b32 v41, v5, v4, 16
	v_lshrrev_b32_e32 v42, 16, v6
	v_bfi_b32 v40, 0xffff, v6, v1
.LBB0_9:
	s_or_b32 exec_lo, exec_lo, s1
	v_and_b32_e32 v5, 0xff, v77
	v_and_b32_e32 v6, 0xff, v39
	s_waitcnt lgkmcnt(0)
	v_lshrrev_b32_e32 v50, 16, v34
	v_lshrrev_b32_e32 v51, 16, v32
	;; [unrolled: 1-line block ×3, first 2 shown]
	v_mul_lo_u16 v12, 0xab, v5
	v_mul_lo_u16 v6, 0xab, v6
	v_lshrrev_b32_e32 v54, 16, v8
	v_lshrrev_b32_e32 v61, 16, v25
	;; [unrolled: 1-line block ×3, first 2 shown]
	v_lshrrev_b16 v45, 9, v12
	v_and_b32_e32 v12, 0xff, v38
	v_lshrrev_b16 v46, 9, v6
	v_lshrrev_b32_e32 v53, 16, v10
	v_lshrrev_b32_e32 v56, 16, v35
	v_mul_lo_u16 v6, v45, 3
	v_mul_lo_u16 v12, 0xab, v12
	;; [unrolled: 1-line block ×3, first 2 shown]
	v_lshrrev_b32_e32 v57, 16, v33
	v_lshrrev_b32_e32 v90, 16, v11
	v_sub_nc_u16 v6, v77, v6
	v_lshrrev_b16 v82, 9, v12
	v_sub_nc_u16 v13, v39, v13
	v_lshrrev_b32_e32 v95, 16, v7
	v_lshrrev_b32_e32 v96, 16, v41
	v_and_b32_e32 v47, 0xff, v6
	v_mul_lo_u16 v6, v82, 3
	v_and_b32_e32 v48, 0xff, v13
	v_lshrrev_b32_e32 v49, 16, v2
	v_lshrrev_b32_e32 v97, 16, v40
	v_mad_u64_u32 v[12:13], null, v47, 20, s[2:3]
	v_sub_nc_u16 v6, v38, v6
	v_mad_u64_u32 v[14:15], null, v48, 20, s[2:3]
	v_lshrrev_b32_e32 v55, 16, v3
	v_and_b32_e32 v84, 0xff, v6
	global_load_dwordx4 v[20:23], v[12:13], off
	v_mov_b32_e32 v6, 18
	global_load_dwordx4 v[16:19], v[14:15], off
	v_mad_u64_u32 v[43:44], null, v84, 20, s[2:3]
	s_clause 0x3
	global_load_dword v93, v[12:13], off offset:16
	global_load_dword v92, v[14:15], off offset:16
	global_load_dwordx4 v[12:15], v[43:44], off
	global_load_dword v91, v[43:44], off offset:16
	v_mul_u32_u24_sdwa v44, v45, v6 dst_sel:DWORD dst_unused:UNUSED_PAD src0_sel:WORD_0 src1_sel:DWORD
	v_mul_u32_u24_sdwa v45, v46, v6 dst_sel:DWORD dst_unused:UNUSED_PAD src0_sel:WORD_0 src1_sel:DWORD
	v_lshrrev_b32_e32 v43, 16, v0
	s_waitcnt vmcnt(0)
	s_barrier
	v_add_lshl_u32 v89, v44, v47, 2
	v_add_lshl_u32 v88, v45, v48, 2
	buffer_gl0_inv
	v_mul_f16_sdwa v98, v50, v20 dst_sel:DWORD dst_unused:UNUSED_PAD src0_sel:DWORD src1_sel:WORD_1
	v_mul_f16_sdwa v99, v34, v20 dst_sel:DWORD dst_unused:UNUSED_PAD src0_sel:DWORD src1_sel:WORD_1
	;; [unrolled: 1-line block ×25, first 2 shown]
	v_fma_f16 v34, v34, v20, -v98
	v_fma_f16 v32, v32, v21, -v100
	;; [unrolled: 1-line block ×4, first 2 shown]
	v_fmac_f16_e32 v99, v50, v20
	v_fmac_f16_e32 v101, v51, v21
	;; [unrolled: 1-line block ×5, first 2 shown]
	v_fma_f16 v50, v8, v93, -v112
	v_fmac_f16_e32 v110, v61, v18
	v_fma_f16 v51, v9, v92, -v116
	v_fmac_f16_e32 v117, v94, v92
	v_mul_f16_sdwa v44, v4, v15 dst_sel:DWORD dst_unused:UNUSED_PAD src0_sel:DWORD src1_sel:WORD_1
	v_mul_f16_sdwa v121, v42, v13 dst_sel:DWORD dst_unused:UNUSED_PAD src0_sel:DWORD src1_sel:WORD_1
	v_fma_f16 v35, v35, v16, -v102
	v_fma_f16 v33, v33, v17, -v105
	v_fmac_f16_e32 v106, v56, v16
	v_fma_f16 v10, v10, v23, -v109
	v_fmac_f16_e32 v108, v57, v17
	;; [unrolled: 2-line block ×3, first 2 shown]
	v_mul_f16_sdwa v119, v41, v15 dst_sel:DWORD dst_unused:UNUSED_PAD src0_sel:DWORD src1_sel:WORD_1
	v_mul_f16_sdwa v47, v1, v12 dst_sel:DWORD dst_unused:UNUSED_PAD src0_sel:DWORD src1_sel:WORD_1
	;; [unrolled: 1-line block ×3, first 2 shown]
	v_fma_f16 v8, v7, v14, -v118
	v_fmac_f16_e32 v46, v95, v14
	v_fma_f16 v7, v96, v91, -v120
	v_fmac_f16_e32 v45, v26, v91
	v_fmac_f16_e32 v48, v42, v13
	v_add_f16_e32 v26, v2, v32
	v_add_f16_e32 v42, v49, v101
	;; [unrolled: 1-line block ×9, first 2 shown]
	v_fmac_f16_e32 v44, v41, v15
	v_fma_f16 v9, v40, v13, -v121
	v_add_f16_e32 v40, v32, v10
	v_sub_f16_e32 v41, v101, v111
	v_add_f16_e32 v90, v3, v33
	v_add_f16_e32 v94, v33, v11
	;; [unrolled: 1-line block ×6, first 2 shown]
	v_fma_f16 v4, v4, v15, -v119
	v_fmac_f16_e32 v47, v97, v12
	v_fma_f16 v1, v1, v12, -v122
	v_sub_f16_e32 v56, v104, v113
	v_sub_f16_e32 v24, v24, v50
	;; [unrolled: 1-line block ×4, first 2 shown]
	v_add_f16_e32 v109, v8, v7
	v_add_f16_e32 v112, v46, v45
	;; [unrolled: 1-line block ×4, first 2 shown]
	v_fmac_f16_e32 v49, -0.5, v52
	v_add_f16_e32 v50, v53, v50
	v_add_f16_e32 v52, v57, v113
	v_fmac_f16_e32 v35, -0.5, v96
	v_fmac_f16_e32 v106, -0.5, v98
	;; [unrolled: 1-line block ×4, first 2 shown]
	v_sub_f16_e32 v32, v32, v10
	v_sub_f16_e32 v100, v108, v115
	;; [unrolled: 1-line block ×3, first 2 shown]
	v_fmac_f16_e32 v3, -0.5, v94
	v_fma_f16 v40, -0.5, v40, v2
	v_add_f16_e32 v11, v90, v11
	v_add_f16_e32 v53, v102, v115
	v_fmac_f16_e32 v55, -0.5, v103
	v_add_f16_e32 v51, v95, v51
	v_add_f16_e32 v54, v101, v117
	;; [unrolled: 1-line block ×4, first 2 shown]
	v_sub_f16_e32 v110, v46, v45
	v_sub_f16_e32 v114, v8, v7
	v_fma_f16 v57, -0.5, v109, v1
	v_fma_f16 v61, -0.5, v112, v47
	v_fmamk_f16 v90, v97, 0x3aee, v35
	v_fmac_f16_e32 v35, 0xbaee, v97
	v_fmamk_f16 v95, v25, 0xbaee, v106
	v_fmac_f16_e32 v106, 0x3aee, v25
	v_add_f16_e32 v25, v26, v50
	v_add_f16_e32 v96, v42, v52
	v_fmamk_f16 v97, v24, 0xbaee, v99
	v_fmamk_f16 v98, v56, 0x3aee, v34
	;; [unrolled: 1-line block ×3, first 2 shown]
	v_fmac_f16_e32 v3, 0xbaee, v100
	v_fmamk_f16 v100, v41, 0x3aee, v40
	v_fmamk_f16 v101, v32, 0xbaee, v49
	v_fmac_f16_e32 v40, 0xbaee, v41
	v_fmac_f16_e32 v49, 0x3aee, v32
	;; [unrolled: 1-line block ×4, first 2 shown]
	v_sub_f16_e32 v32, v42, v52
	v_fmamk_f16 v41, v33, 0xbaee, v55
	v_fmac_f16_e32 v55, 0x3aee, v33
	v_add_f16_e32 v33, v11, v51
	v_sub_f16_e32 v42, v11, v51
	v_sub_f16_e32 v51, v53, v54
	;; [unrolled: 1-line block ×3, first 2 shown]
	v_fma_f16 v2, -0.5, v104, v0
	v_sub_f16_e32 v108, v9, v4
	v_fma_f16 v10, -0.5, v107, v43
	v_sub_f16_e32 v26, v26, v50
	v_add_f16_e32 v50, v53, v54
	v_fmamk_f16 v52, v110, 0x3aee, v57
	v_fmac_f16_e32 v57, 0xbaee, v110
	v_fmamk_f16 v53, v114, 0xbaee, v61
	v_fmac_f16_e32 v61, 0x3aee, v114
	v_pack_b32_f16 v56, v25, v96
	v_mul_f16_e32 v96, 0x3aee, v97
	v_mul_f16_e32 v102, 0xbaee, v98
	v_mul_f16_e32 v54, -0.5, v35
	v_pack_b32_f16 v42, v42, v51
	v_mul_f16_e32 v51, -0.5, v34
	v_mul_f16_e32 v104, -0.5, v99
	v_fmamk_f16 v11, v105, 0x3aee, v2
	v_fmac_f16_e32 v2, 0xbaee, v105
	v_mul_f16_e32 v105, 0x3aee, v95
	v_mul_f16_e32 v107, 0xbaee, v90
	v_fmamk_f16 v24, v108, 0xbaee, v10
	v_fmac_f16_e32 v10, 0x3aee, v108
	v_mul_f16_e32 v108, -0.5, v106
	v_pack_b32_f16 v103, v26, v32
	v_pack_b32_f16 v50, v33, v50
	v_mul_f16_e32 v25, 0x3aee, v53
	v_mul_f16_e32 v32, 0xbaee, v52
	v_mul_f16_e32 v26, -0.5, v57
	v_mul_f16_e32 v33, -0.5, v61
	v_fmac_f16_e32 v96, 0.5, v98
	v_fmac_f16_e32 v102, 0.5, v97
	v_fmac_f16_e32 v54, 0x3aee, v106
	v_fmac_f16_e32 v51, 0x3aee, v99
	;; [unrolled: 1-line block ×3, first 2 shown]
	v_fmac_f16_e32 v105, 0.5, v90
	v_fmac_f16_e32 v107, 0.5, v95
	v_fmac_f16_e32 v108, 0xbaee, v35
	v_fmac_f16_e32 v25, 0.5, v52
	v_fmac_f16_e32 v32, 0.5, v53
	v_fmac_f16_e32 v26, 0x3aee, v61
	v_fmac_f16_e32 v33, 0xbaee, v57
	v_add_f16_e32 v35, v100, v96
	v_add_f16_e32 v52, v101, v102
	;; [unrolled: 1-line block ×3, first 2 shown]
	v_sub_f16_e32 v3, v3, v54
	v_add_f16_e32 v54, v40, v51
	v_add_f16_e32 v57, v49, v104
	v_sub_f16_e32 v53, v100, v96
	v_sub_f16_e32 v40, v40, v51
	;; [unrolled: 1-line block ×4, first 2 shown]
	v_add_f16_e32 v90, v94, v105
	v_add_f16_e32 v98, v41, v107
	;; [unrolled: 1-line block ×3, first 2 shown]
	v_sub_f16_e32 v97, v94, v105
	v_sub_f16_e32 v41, v41, v107
	;; [unrolled: 1-line block ×7, first 2 shown]
	v_pack_b32_f16 v35, v35, v52
	v_pack_b32_f16 v52, v54, v57
	;; [unrolled: 1-line block ×8, first 2 shown]
	ds_write2_b32 v89, v56, v35 offset1:3
	ds_write2_b32 v89, v52, v103 offset0:6 offset1:9
	ds_write2_b32 v89, v51, v40 offset0:12 offset1:15
	ds_write2_b32 v88, v50, v49 offset1:3
	ds_write2_b32 v88, v34, v42 offset0:6 offset1:9
	ds_write2_b32 v88, v41, v3 offset0:12 offset1:15
	s_and_saveexec_b32 s1, s0
	s_cbranch_execz .LBB0_11
; %bb.10:
	v_add_f16_e32 v3, v43, v48
	v_add_f16_e32 v34, v47, v46
	;; [unrolled: 1-line block ×10, first 2 shown]
	v_mul_u32_u24_sdwa v6, v82, v6 dst_sel:DWORD dst_unused:UNUSED_PAD src0_sel:WORD_0 src1_sel:DWORD
	v_sub_f16_e32 v7, v3, v8
	v_add_f16_e32 v3, v3, v8
	v_add_f16_e32 v8, v0, v1
	;; [unrolled: 1-line block ×4, first 2 shown]
	v_sub_f16_e32 v0, v0, v1
	v_add_lshl_u32 v1, v6, v84, 2
	v_pack_b32_f16 v3, v8, v3
	v_pack_b32_f16 v4, v10, v4
	;; [unrolled: 1-line block ×4, first 2 shown]
	v_perm_b32 v6, v95, v61, 0x5040100
	v_perm_b32 v7, v96, v94, 0x5040100
	ds_write2_b32 v1, v3, v4 offset1:3
	ds_write2_b32 v1, v2, v0 offset0:6 offset1:9
	ds_write2_b32 v1, v6, v7 offset0:12 offset1:15
.LBB0_11:
	s_or_b32 exec_lo, exec_lo, s1
	v_mul_lo_u16 v0, v5, 57
	s_waitcnt lgkmcnt(0)
	s_barrier
	buffer_gl0_inv
	v_add_nc_u32_e32 v99, 0x400, v62
	v_lshrrev_b16 v52, 10, v0
	v_add_nc_u32_e32 v101, 0x800, v62
	v_add_nc_u32_e32 v100, 0xa00, v62
	;; [unrolled: 1-line block ×3, first 2 shown]
	v_mov_b32_e32 v55, 0x120
	v_mul_lo_u16 v0, v52, 18
	v_mul_u32_u24_sdwa v52, v52, v55 dst_sel:DWORD dst_unused:UNUSED_PAD src0_sel:WORD_0 src1_sel:DWORD
	v_sub_nc_u16 v0, v77, v0
	v_and_b32_e32 v53, 0xff, v0
	v_mad_u64_u32 v[24:25], null, v53, 60, s[2:3]
	v_or_b32_e32 v52, v52, v53
	s_clause 0x3
	global_load_dwordx4 v[8:11], v[24:25], off offset:60
	global_load_dwordx4 v[4:7], v[24:25], off offset:76
	;; [unrolled: 1-line block ×3, first 2 shown]
	global_load_dwordx3 v[24:26], v[24:25], off offset:108
	ds_read2_b32 v[32:33], v62 offset1:54
	ds_read2_b32 v[34:35], v62 offset0:108 offset1:162
	ds_read2_b32 v[40:41], v54 offset0:88 offset1:142
	;; [unrolled: 1-line block ×7, first 2 shown]
	v_lshlrev_b32_e32 v90, 2, v52
	s_waitcnt vmcnt(0) lgkmcnt(0)
	s_barrier
	buffer_gl0_inv
	v_add_nc_u32_e32 v111, 0x200, v90
	v_lshrrev_b32_e32 v57, 16, v34
	v_lshrrev_b32_e32 v56, 16, v33
	;; [unrolled: 1-line block ×16, first 2 shown]
	v_mul_f16_sdwa v112, v56, v8 dst_sel:DWORD dst_unused:UNUSED_PAD src0_sel:DWORD src1_sel:WORD_1
	v_mul_f16_sdwa v113, v33, v8 dst_sel:DWORD dst_unused:UNUSED_PAD src0_sel:DWORD src1_sel:WORD_1
	;; [unrolled: 1-line block ×30, first 2 shown]
	v_fma_f16 v33, v33, v8, -v112
	v_fmac_f16_e32 v113, v56, v8
	v_fma_f16 v34, v34, v9, -v114
	v_fmac_f16_e32 v115, v57, v9
	;; [unrolled: 2-line block ×15, first 2 shown]
	v_sub_f16_e32 v44, v32, v44
	v_sub_f16_e32 v52, v55, v127
	;; [unrolled: 1-line block ×16, first 2 shown]
	v_fma_f16 v55, v55, 2.0, -v52
	v_fma_f16 v40, v40, 2.0, -v48
	;; [unrolled: 1-line block ×12, first 2 shown]
	v_sub_f16_e32 v53, v44, v53
	v_add_f16_e32 v48, v52, v48
	v_sub_f16_e32 v57, v46, v57
	v_add_f16_e32 v50, v56, v50
	;; [unrolled: 2-line block ×4, first 2 shown]
	v_fma_f16 v32, v32, 2.0, -v44
	v_fma_f16 v34, v34, 2.0, -v46
	;; [unrolled: 1-line block ×4, first 2 shown]
	v_sub_f16_e32 v104, v55, v104
	v_fma_f16 v44, v44, 2.0, -v53
	v_fma_f16 v52, v52, 2.0, -v48
	v_sub_f16_e32 v106, v105, v106
	v_fma_f16 v46, v46, 2.0, -v57
	v_fma_f16 v56, v56, 2.0, -v50
	;; [unrolled: 3-line block ×4, first 2 shown]
	v_fmamk_f16 v110, v57, 0x39a8, v53
	v_fmamk_f16 v113, v50, 0x39a8, v48
	v_sub_f16_e32 v40, v32, v40
	v_sub_f16_e32 v42, v34, v42
	;; [unrolled: 1-line block ×4, first 2 shown]
	v_fmamk_f16 v114, v103, 0x39a8, v98
	v_fmamk_f16 v115, v51, 0x39a8, v49
	v_fma_f16 v55, v55, 2.0, -v104
	v_fma_f16 v105, v105, 2.0, -v106
	;; [unrolled: 1-line block ×4, first 2 shown]
	v_fmamk_f16 v116, v46, 0xb9a8, v44
	v_fmamk_f16 v117, v56, 0xb9a8, v52
	v_fmac_f16_e32 v110, 0xb9a8, v50
	v_fmac_f16_e32 v113, 0x39a8, v57
	v_fmamk_f16 v50, v47, 0xb9a8, v45
	v_fmamk_f16 v57, v102, 0xb9a8, v112
	v_fma_f16 v34, v34, 2.0, -v42
	v_fma_f16 v35, v35, 2.0, -v43
	v_sub_f16_e32 v106, v40, v106
	v_add_f16_e32 v42, v104, v42
	v_sub_f16_e32 v118, v41, v97
	v_add_f16_e32 v43, v108, v43
	v_fmac_f16_e32 v114, 0xb9a8, v51
	v_fmac_f16_e32 v115, 0x39a8, v103
	v_fma_f16 v32, v32, 2.0, -v40
	v_fma_f16 v33, v33, 2.0, -v41
	v_sub_f16_e32 v51, v55, v105
	v_fmac_f16_e32 v116, 0xb9a8, v56
	v_fmac_f16_e32 v117, 0x39a8, v46
	v_sub_f16_e32 v56, v107, v109
	v_fmac_f16_e32 v50, 0xb9a8, v102
	v_fmac_f16_e32 v57, 0x39a8, v47
	v_fma_f16 v40, v40, 2.0, -v106
	v_fma_f16 v46, v104, 2.0, -v42
	;; [unrolled: 1-line block ×8, first 2 shown]
	v_sub_f16_e32 v34, v32, v34
	v_sub_f16_e32 v35, v33, v35
	v_fmamk_f16 v103, v118, 0x39a8, v106
	v_fmamk_f16 v104, v43, 0x39a8, v42
	;; [unrolled: 1-line block ×4, first 2 shown]
	v_fma_f16 v55, v55, 2.0, -v51
	v_fma_f16 v44, v44, 2.0, -v116
	;; [unrolled: 1-line block ×6, first 2 shown]
	v_fmamk_f16 v108, v41, 0xb9a8, v40
	v_fmamk_f16 v109, v47, 0xb9a8, v46
	;; [unrolled: 1-line block ×6, first 2 shown]
	v_fma_f16 v33, v33, 2.0, -v35
	v_sub_f16_e32 v56, v34, v56
	v_add_f16_e32 v35, v51, v35
	v_fmac_f16_e32 v103, 0xb9a8, v43
	v_fmac_f16_e32 v104, 0x39a8, v118
	;; [unrolled: 1-line block ×4, first 2 shown]
	v_fma_f16 v32, v32, 2.0, -v34
	v_sub_f16_e32 v43, v55, v105
	v_fmamk_f16 v105, v45, 0xbb64, v44
	v_fmamk_f16 v114, v107, 0xbb64, v52
	v_fmac_f16_e32 v108, 0xb9a8, v47
	v_fmac_f16_e32 v109, 0x39a8, v41
	;; [unrolled: 1-line block ×6, first 2 shown]
	v_fma_f16 v34, v34, 2.0, -v56
	v_fma_f16 v41, v51, 2.0, -v35
	;; [unrolled: 1-line block ×6, first 2 shown]
	v_sub_f16_e32 v33, v32, v33
	v_fmac_f16_e32 v105, 0xb61f, v107
	v_fmac_f16_e32 v114, 0x361f, v45
	v_fma_f16 v40, v40, 2.0, -v108
	v_fma_f16 v45, v46, 2.0, -v109
	;; [unrolled: 1-line block ×6, first 2 shown]
	v_pack_b32_f16 v34, v34, v41
	v_pack_b32_f16 v41, v47, v42
	;; [unrolled: 1-line block ×3, first 2 shown]
	v_fma_f16 v32, v32, 2.0, -v33
	v_fma_f16 v55, v55, 2.0, -v43
	;; [unrolled: 1-line block ×4, first 2 shown]
	v_pack_b32_f16 v35, v56, v35
	v_pack_b32_f16 v51, v103, v104
	;; [unrolled: 1-line block ×10, first 2 shown]
	ds_write2_b32 v90, v41, v42 offset0:108 offset1:126
	v_pack_b32_f16 v41, v105, v114
	v_pack_b32_f16 v32, v32, v55
	;; [unrolled: 1-line block ×3, first 2 shown]
	ds_write2_b32 v111, v51, v56 offset0:124 offset1:142
	ds_write2_b32 v90, v43, v47 offset0:180 offset1:198
	;; [unrolled: 1-line block ×6, first 2 shown]
	ds_write2_b32 v90, v32, v42 offset1:18
	s_waitcnt lgkmcnt(0)
	s_barrier
	buffer_gl0_inv
	ds_read2_b32 v[46:47], v62 offset1:54
	ds_read2_b32 v[44:45], v54 offset0:88 offset1:160
	ds_read2_b32 v[54:55], v101 offset0:64 offset1:118
	;; [unrolled: 1-line block ×6, first 2 shown]
	ds_read_b32 v102, v62 offset:3168
	s_and_saveexec_b32 s1, vcc_lo
	s_cbranch_execz .LBB0_13
; %bb.12:
	ds_read_b32 v97, v62 offset:1080
	ds_read_b32 v61, v62 offset:2232
	;; [unrolled: 1-line block ×3, first 2 shown]
	s_waitcnt lgkmcnt(2)
	v_lshrrev_b32_e32 v98, 16, v97
	s_waitcnt lgkmcnt(1)
	v_lshrrev_b32_e32 v95, 16, v61
	;; [unrolled: 2-line block ×3, first 2 shown]
.LBB0_13:
	s_or_b32 exec_lo, exec_lo, s1
	v_lshlrev_b32_e32 v32, 3, v77
	v_lshlrev_b32_e32 v33, 3, v39
	s_waitcnt lgkmcnt(5)
	v_lshrrev_b32_e32 v103, 16, v54
	s_waitcnt lgkmcnt(4)
	v_lshrrev_b32_e32 v105, 16, v56
	v_lshrrev_b32_e32 v106, 16, v55
	s_clause 0x1
	global_load_dwordx2 v[42:43], v32, s[2:3] offset:1140
	global_load_dwordx2 v[40:41], v33, s[2:3] offset:1140
	v_lshlrev_b32_e32 v32, 3, v38
	v_lshlrev_b32_e32 v33, 3, v37
	v_lshrrev_b32_e32 v108, 16, v57
	s_waitcnt lgkmcnt(1)
	v_lshrrev_b32_e32 v114, 16, v53
	v_lshrrev_b32_e32 v109, 16, v50
	global_load_dwordx2 v[38:39], v32, s[2:3] offset:1140
	v_lshlrev_b32_e32 v32, 3, v36
	s_clause 0x1
	global_load_dwordx2 v[36:37], v33, s[2:3] offset:1140
	global_load_dwordx2 v[34:35], v32, s[2:3] offset:1140
	v_add_co_u32 v32, s1, 0xffffffee, v77
	v_add_co_ci_u32_e64 v33, null, 0, -1, s1
	v_lshrrev_b32_e32 v111, 16, v52
	v_cndmask_b32_e32 v32, v32, v59, vcc_lo
	v_lshrrev_b32_e32 v112, 16, v51
	v_cndmask_b32_e32 v33, v33, v60, vcc_lo
	v_lshrrev_b32_e32 v60, 16, v45
	s_waitcnt lgkmcnt(0)
	v_lshrrev_b32_e32 v115, 16, v102
	v_lshrrev_b32_e32 v59, 16, v46
	;; [unrolled: 1-line block ×3, first 2 shown]
	v_lshlrev_b64 v[32:33], 3, v[32:33]
	v_lshrrev_b32_e32 v107, 16, v48
	v_lshrrev_b32_e32 v110, 16, v49
	v_lshrrev_b32_e32 v113, 16, v44
	v_add_co_u32 v32, s1, s2, v32
	v_add_co_ci_u32_e64 v33, s1, s3, v33, s1
	global_load_dwordx2 v[32:33], v[32:33], off offset:1140
	s_waitcnt vmcnt(5)
	v_mul_f16_sdwa v116, v60, v42 dst_sel:DWORD dst_unused:UNUSED_PAD src0_sel:DWORD src1_sel:WORD_1
	v_mul_f16_sdwa v117, v45, v42 dst_sel:DWORD dst_unused:UNUSED_PAD src0_sel:DWORD src1_sel:WORD_1
	v_mul_f16_sdwa v118, v103, v43 dst_sel:DWORD dst_unused:UNUSED_PAD src0_sel:DWORD src1_sel:WORD_1
	s_waitcnt vmcnt(4)
	v_mul_f16_sdwa v120, v105, v40 dst_sel:DWORD dst_unused:UNUSED_PAD src0_sel:DWORD src1_sel:WORD_1
	v_mul_f16_sdwa v121, v56, v40 dst_sel:DWORD dst_unused:UNUSED_PAD src0_sel:DWORD src1_sel:WORD_1
	v_mul_f16_sdwa v122, v106, v41 dst_sel:DWORD dst_unused:UNUSED_PAD src0_sel:DWORD src1_sel:WORD_1
	v_mul_f16_sdwa v123, v55, v41 dst_sel:DWORD dst_unused:UNUSED_PAD src0_sel:DWORD src1_sel:WORD_1
	s_waitcnt vmcnt(3)
	v_mul_f16_sdwa v124, v108, v38 dst_sel:DWORD dst_unused:UNUSED_PAD src0_sel:DWORD src1_sel:WORD_1
	v_mul_f16_sdwa v125, v57, v38 dst_sel:DWORD dst_unused:UNUSED_PAD src0_sel:DWORD src1_sel:WORD_1
	v_mul_f16_sdwa v127, v50, v39 dst_sel:DWORD dst_unused:UNUSED_PAD src0_sel:DWORD src1_sel:WORD_1
	v_mul_f16_sdwa v119, v54, v43 dst_sel:DWORD dst_unused:UNUSED_PAD src0_sel:DWORD src1_sel:WORD_1
	s_waitcnt vmcnt(2)
	v_mul_f16_sdwa v129, v52, v36 dst_sel:DWORD dst_unused:UNUSED_PAD src0_sel:DWORD src1_sel:WORD_1
	v_mul_f16_sdwa v131, v51, v37 dst_sel:DWORD dst_unused:UNUSED_PAD src0_sel:DWORD src1_sel:WORD_1
	s_waitcnt vmcnt(1)
	v_mul_f16_sdwa v132, v114, v34 dst_sel:DWORD dst_unused:UNUSED_PAD src0_sel:DWORD src1_sel:WORD_1
	v_mul_f16_sdwa v133, v53, v34 dst_sel:DWORD dst_unused:UNUSED_PAD src0_sel:DWORD src1_sel:WORD_1
	;; [unrolled: 1-line block ×6, first 2 shown]
	v_fma_f16 v45, v45, v42, -v116
	v_fmac_f16_e32 v117, v60, v42
	v_fma_f16 v54, v54, v43, -v118
	v_fma_f16 v56, v56, v40, -v120
	v_fmac_f16_e32 v121, v105, v40
	v_fma_f16 v55, v55, v41, -v122
	v_fmac_f16_e32 v123, v106, v41
	v_fma_f16 v57, v57, v38, -v124
	v_fmac_f16_e32 v125, v108, v38
	v_fmac_f16_e32 v127, v109, v39
	v_fmac_f16_e32 v129, v111, v36
	;; [unrolled: 1-line block ×3, first 2 shown]
	v_fma_f16 v53, v53, v34, -v132
	v_fmac_f16_e32 v133, v114, v34
	v_fmac_f16_e32 v135, v115, v35
	v_mul_f16_sdwa v130, v112, v37 dst_sel:DWORD dst_unused:UNUSED_PAD src0_sel:DWORD src1_sel:WORD_1
	v_fmac_f16_e32 v119, v103, v43
	v_fma_f16 v50, v50, v39, -v126
	v_fma_f16 v52, v52, v36, -v128
	;; [unrolled: 1-line block ×3, first 2 shown]
	v_add_f16_e32 v102, v46, v45
	v_add_f16_e32 v103, v45, v54
	;; [unrolled: 1-line block ×5, first 2 shown]
	v_sub_f16_e32 v112, v121, v123
	v_add_f16_e32 v114, v104, v121
	v_add_f16_e32 v115, v121, v123
	v_add_f16_e32 v116, v48, v57
	v_sub_f16_e32 v118, v125, v127
	v_add_f16_e32 v120, v107, v125
	v_add_f16_e32 v121, v125, v127
	v_sub_f16_e32 v125, v129, v131
	v_add_f16_e32 v126, v110, v129
	v_add_f16_e32 v128, v129, v131
	;; [unrolled: 1-line block ×3, first 2 shown]
	v_sub_f16_e32 v132, v133, v135
	v_add_f16_e32 v134, v113, v133
	v_add_f16_e32 v133, v133, v135
	v_fma_f16 v51, v51, v37, -v130
	v_sub_f16_e32 v105, v117, v119
	v_add_f16_e32 v108, v117, v119
	v_sub_f16_e32 v45, v45, v54
	v_sub_f16_e32 v56, v56, v55
	v_add_f16_e32 v117, v57, v50
	v_sub_f16_e32 v57, v57, v50
	v_add_f16_e32 v130, v53, v60
	;; [unrolled: 2-line block ×3, first 2 shown]
	v_fma_f16 v46, -0.5, v103, v46
	v_add_f16_e32 v102, v106, v119
	v_add_f16_e32 v55, v109, v55
	v_fmac_f16_e32 v47, -0.5, v111
	v_add_f16_e32 v103, v114, v123
	v_fmac_f16_e32 v104, -0.5, v115
	v_add_f16_e32 v50, v116, v50
	v_add_f16_e32 v60, v129, v60
	;; [unrolled: 1-line block ×3, first 2 shown]
	v_fmac_f16_e32 v113, -0.5, v133
	s_waitcnt vmcnt(0)
	v_mul_f16_sdwa v111, v95, v32 dst_sel:DWORD dst_unused:UNUSED_PAD src0_sel:DWORD src1_sel:WORD_1
	v_mul_f16_sdwa v114, v61, v32 dst_sel:DWORD dst_unused:UNUSED_PAD src0_sel:DWORD src1_sel:WORD_1
	v_mul_f16_sdwa v115, v96, v33 dst_sel:DWORD dst_unused:UNUSED_PAD src0_sel:DWORD src1_sel:WORD_1
	v_mul_f16_sdwa v116, v94, v33 dst_sel:DWORD dst_unused:UNUSED_PAD src0_sel:DWORD src1_sel:WORD_1
	v_fmac_f16_e32 v59, -0.5, v108
	v_fma_f16 v48, -0.5, v117, v48
	v_add_f16_e32 v106, v120, v127
	v_fmac_f16_e32 v107, -0.5, v121
	v_fmamk_f16 v120, v53, 0xbaee, v113
	v_fmac_f16_e32 v113, 0x3aee, v53
	v_pack_b32_f16 v53, v54, v102
	v_pack_b32_f16 v54, v55, v103
	;; [unrolled: 1-line block ×3, first 2 shown]
	v_fma_f16 v60, v61, v32, -v111
	v_fmac_f16_e32 v114, v95, v32
	v_fma_f16 v61, v94, v33, -v115
	v_fmac_f16_e32 v116, v96, v33
	v_add_f16_e32 v124, v52, v51
	v_fmamk_f16 v117, v105, 0x3aee, v46
	v_fmac_f16_e32 v46, 0xbaee, v105
	v_fmamk_f16 v105, v45, 0xbaee, v59
	v_fmac_f16_e32 v59, 0x3aee, v45
	;; [unrolled: 2-line block ×5, first 2 shown]
	v_fmamk_f16 v118, v57, 0xbaee, v107
	v_add_f16_e32 v95, v60, v61
	v_add_f16_e32 v103, v114, v116
	;; [unrolled: 1-line block ×3, first 2 shown]
	v_sub_f16_e32 v52, v52, v51
	v_fmac_f16_e32 v49, -0.5, v124
	v_fmac_f16_e32 v110, -0.5, v128
	;; [unrolled: 1-line block ×3, first 2 shown]
	v_fmac_f16_e32 v107, 0x3aee, v57
	v_pack_b32_f16 v94, v117, v105
	v_pack_b32_f16 v46, v46, v59
	;; [unrolled: 1-line block ×4, first 2 shown]
	v_add_f16_e32 v59, v97, v60
	v_sub_f16_e32 v96, v114, v116
	v_add_f16_e32 v102, v98, v114
	v_sub_f16_e32 v60, v60, v61
	v_fmac_f16_e32 v97, -0.5, v95
	v_fmac_f16_e32 v98, -0.5, v103
	v_add_f16_e32 v51, v122, v51
	v_add_f16_e32 v108, v126, v131
	v_fmamk_f16 v57, v125, 0x3aee, v49
	v_fmamk_f16 v119, v52, 0xbaee, v110
	v_fmac_f16_e32 v110, 0x3aee, v52
	v_fmamk_f16 v52, v132, 0x3aee, v44
	v_fmac_f16_e32 v49, 0xbaee, v125
	v_fmac_f16_e32 v44, 0xbaee, v132
	v_pack_b32_f16 v47, v47, v104
	v_pack_b32_f16 v48, v48, v107
	ds_write_b32 v62, v94 offset:1152
	ds_write_b32 v62, v46 offset:2304
	ds_write2_b32 v62, v53, v54 offset1:54
	ds_write2_b32 v99, v45, v56 offset0:86 offset1:140
	v_add_f16_e32 v45, v59, v61
	v_add_f16_e32 v94, v102, v116
	v_fmamk_f16 v95, v96, 0x3aee, v97
	v_fmac_f16_e32 v97, 0xbaee, v96
	v_fmamk_f16 v96, v60, 0xbaee, v98
	v_fmac_f16_e32 v98, 0x3aee, v60
	v_pack_b32_f16 v50, v50, v106
	v_pack_b32_f16 v51, v51, v108
	;; [unrolled: 1-line block ×6, first 2 shown]
	ds_write2_b32 v101, v47, v48 offset0:118 offset1:172
	ds_write2_b32 v62, v50, v51 offset0:108 offset1:162
	ds_write_b32 v62, v55 offset:864
	ds_write2_b32 v99, v57, v52 offset0:194 offset1:248
	ds_write2_b32 v100, v49, v44 offset0:98 offset1:152
	s_and_saveexec_b32 s1, vcc_lo
	s_cbranch_execz .LBB0_15
; %bb.14:
	v_perm_b32 v44, v94, v45, 0x5040100
	v_perm_b32 v46, v96, v95, 0x5040100
	;; [unrolled: 1-line block ×3, first 2 shown]
	ds_write_b32 v62, v44 offset:1080
	ds_write_b32 v62, v46 offset:2232
	;; [unrolled: 1-line block ×3, first 2 shown]
.LBB0_15:
	s_or_b32 exec_lo, exec_lo, s1
	v_lshlrev_b32_e32 v44, 2, v77
	s_add_u32 s2, s12, 0xd80
	s_addc_u32 s3, s13, 0
	s_waitcnt lgkmcnt(0)
	s_barrier
	buffer_gl0_inv
	global_load_dword v50, v44, s[2:3]
	v_add_co_u32 v46, s1, s2, v44
	v_add_co_ci_u32_e64 v47, null, s3, 0, s1
	v_add_co_u32 v48, s1, 0x800, v46
	v_add_co_ci_u32_e64 v49, s1, 0, v47, s1
	s_clause 0xd
	global_load_dword v61, v44, s[2:3] offset:216
	global_load_dword v101, v[48:49], off offset:1120
	global_load_dword v103, v44, s[2:3] offset:1368
	global_load_dword v104, v44, s[2:3] offset:432
	;; [unrolled: 1-line block ×5, first 2 shown]
	global_load_dword v108, v58, s[2:3]
	global_load_dword v109, v[48:49], off offset:472
	global_load_dword v110, v44, s[2:3] offset:1584
	global_load_dword v111, v[48:49], off offset:688
	global_load_dword v112, v44, s[2:3] offset:1800
	;; [unrolled: 2-line block ×3, first 2 shown]
	ds_read2_b32 v[51:52], v62 offset1:54
	ds_read_b32 v102, v62 offset:3168
	s_waitcnt lgkmcnt(1)
	v_lshrrev_b32_e32 v44, 16, v51
	v_lshrrev_b32_e32 v99, 16, v52
	s_waitcnt lgkmcnt(0)
	v_lshrrev_b32_e32 v115, 16, v102
	s_waitcnt vmcnt(13)
	v_mul_f16_sdwa v100, v99, v61 dst_sel:DWORD dst_unused:UNUSED_PAD src0_sel:DWORD src1_sel:WORD_1
	v_mul_f16_sdwa v53, v44, v50 dst_sel:DWORD dst_unused:UNUSED_PAD src0_sel:DWORD src1_sel:WORD_1
	;; [unrolled: 1-line block ×4, first 2 shown]
	s_waitcnt vmcnt(12)
	v_mul_f16_sdwa v117, v115, v101 dst_sel:DWORD dst_unused:UNUSED_PAD src0_sel:DWORD src1_sel:WORD_1
	v_mul_f16_sdwa v118, v102, v101 dst_sel:DWORD dst_unused:UNUSED_PAD src0_sel:DWORD src1_sel:WORD_1
	v_fma_f16 v51, v51, v50, -v53
	v_fmac_f16_e32 v54, v44, v50
	v_add_nc_u32_e32 v50, 0x800, v62
	v_add_nc_u32_e32 v44, 0x400, v62
	v_fma_f16 v52, v52, v61, -v100
	v_fmac_f16_e32 v116, v99, v61
	v_pack_b32_f16 v53, v51, v54
	v_add_nc_u32_e32 v51, 0x200, v62
	v_fma_f16 v61, v102, v101, -v117
	v_fmac_f16_e32 v118, v115, v101
	v_pack_b32_f16 v52, v52, v116
	ds_write_b32 v62, v53
	ds_read2_b32 v[53:54], v51 offset0:88 offset1:160
	ds_read2_b32 v[55:56], v50 offset0:64 offset1:118
	;; [unrolled: 1-line block ×6, first 2 shown]
	v_pack_b32_f16 v61, v61, v118
	v_add_nc_u32_e32 v115, 0x600, v62
	v_add_nc_u32_e32 v117, 0xa00, v62
	s_waitcnt lgkmcnt(4)
	v_lshrrev_b32_e32 v119, 16, v55
	v_lshrrev_b32_e32 v116, 16, v54
	s_waitcnt vmcnt(8)
	v_mul_f16_sdwa v118, v54, v106 dst_sel:DWORD dst_unused:UNUSED_PAD src0_sel:DWORD src1_sel:WORD_1
	s_waitcnt vmcnt(6)
	v_mul_f16_sdwa v120, v55, v108 dst_sel:DWORD dst_unused:UNUSED_PAD src0_sel:DWORD src1_sel:WORD_1
	s_waitcnt lgkmcnt(3)
	v_lshrrev_b32_e32 v121, 16, v57
	v_mul_f16_sdwa v122, v57, v103 dst_sel:DWORD dst_unused:UNUSED_PAD src0_sel:DWORD src1_sel:WORD_1
	v_lshrrev_b32_e32 v123, 16, v56
	s_waitcnt vmcnt(5)
	v_mul_f16_sdwa v124, v56, v109 dst_sel:DWORD dst_unused:UNUSED_PAD src0_sel:DWORD src1_sel:WORD_1
	s_waitcnt lgkmcnt(2)
	v_lshrrev_b32_e32 v125, 16, v59
	v_mul_f16_sdwa v126, v59, v104 dst_sel:DWORD dst_unused:UNUSED_PAD src0_sel:DWORD src1_sel:WORD_1
	v_lshrrev_b32_e32 v127, 16, v58
	s_waitcnt vmcnt(4)
	v_mul_f16_sdwa v128, v58, v110 dst_sel:DWORD dst_unused:UNUSED_PAD src0_sel:DWORD src1_sel:WORD_1
	s_waitcnt lgkmcnt(1)
	v_lshrrev_b32_e32 v129, 16, v99
	s_waitcnt vmcnt(3)
	v_mul_f16_sdwa v130, v99, v111 dst_sel:DWORD dst_unused:UNUSED_PAD src0_sel:DWORD src1_sel:WORD_1
	v_lshrrev_b32_e32 v131, 16, v60
	v_mul_f16_sdwa v132, v60, v105 dst_sel:DWORD dst_unused:UNUSED_PAD src0_sel:DWORD src1_sel:WORD_1
	s_waitcnt lgkmcnt(0)
	v_lshrrev_b32_e32 v133, 16, v101
	s_waitcnt vmcnt(2)
	v_mul_f16_sdwa v134, v101, v112 dst_sel:DWORD dst_unused:UNUSED_PAD src0_sel:DWORD src1_sel:WORD_1
	v_lshrrev_b32_e32 v135, 16, v100
	s_waitcnt vmcnt(1)
	v_mul_f16_sdwa v136, v100, v113 dst_sel:DWORD dst_unused:UNUSED_PAD src0_sel:DWORD src1_sel:WORD_1
	v_lshrrev_b32_e32 v137, 16, v53
	v_mul_f16_sdwa v138, v53, v107 dst_sel:DWORD dst_unused:UNUSED_PAD src0_sel:DWORD src1_sel:WORD_1
	v_lshrrev_b32_e32 v139, 16, v102
	v_mul_f16_sdwa v141, v116, v106 dst_sel:DWORD dst_unused:UNUSED_PAD src0_sel:DWORD src1_sel:WORD_1
	v_fmac_f16_e32 v118, v116, v106
	v_mul_f16_sdwa v116, v119, v108 dst_sel:DWORD dst_unused:UNUSED_PAD src0_sel:DWORD src1_sel:WORD_1
	v_fmac_f16_e32 v120, v119, v108
	;; [unrolled: 2-line block ×10, first 2 shown]
	v_mul_f16_sdwa v135, v137, v107 dst_sel:DWORD dst_unused:UNUSED_PAD src0_sel:DWORD src1_sel:WORD_1
	s_waitcnt vmcnt(0)
	v_mul_f16_sdwa v140, v102, v114 dst_sel:DWORD dst_unused:UNUSED_PAD src0_sel:DWORD src1_sel:WORD_1
	v_fmac_f16_e32 v138, v137, v107
	v_mul_f16_sdwa v137, v139, v114 dst_sel:DWORD dst_unused:UNUSED_PAD src0_sel:DWORD src1_sel:WORD_1
	v_fma_f16 v54, v54, v106, -v141
	v_fma_f16 v57, v57, v103, -v119
	v_fma_f16 v59, v59, v104, -v123
	v_fma_f16 v56, v56, v109, -v121
	v_fma_f16 v99, v99, v111, -v127
	v_fma_f16 v58, v58, v110, -v125
	v_fma_f16 v101, v101, v112, -v131
	v_fma_f16 v60, v60, v105, -v129
	v_fma_f16 v53, v53, v107, -v135
	v_fmac_f16_e32 v140, v139, v114
	v_fma_f16 v55, v55, v108, -v116
	v_fma_f16 v100, v100, v113, -v133
	;; [unrolled: 1-line block ×3, first 2 shown]
	v_pack_b32_f16 v54, v54, v118
	v_pack_b32_f16 v57, v57, v122
	;; [unrolled: 1-line block ×12, first 2 shown]
	ds_write2_b32 v44, v54, v57 offset0:32 offset1:86
	ds_write2_b32 v62, v52, v59 offset0:54 offset1:108
	;; [unrolled: 1-line block ×7, first 2 shown]
	s_and_saveexec_b32 s1, vcc_lo
	s_cbranch_execz .LBB0_17
; %bb.16:
	s_clause 0x2
	global_load_dword v46, v[46:47], off offset:1080
	global_load_dword v47, v[48:49], off offset:184
	;; [unrolled: 1-line block ×3, first 2 shown]
	ds_read_b32 v49, v62 offset:1080
	ds_read_b32 v52, v62 offset:2232
	ds_read_b32 v53, v62 offset:3384
	s_waitcnt lgkmcnt(2)
	v_lshrrev_b32_e32 v54, 16, v49
	s_waitcnt lgkmcnt(1)
	v_lshrrev_b32_e32 v55, 16, v52
	;; [unrolled: 2-line block ×3, first 2 shown]
	s_waitcnt vmcnt(2)
	v_mul_f16_sdwa v57, v54, v46 dst_sel:DWORD dst_unused:UNUSED_PAD src0_sel:DWORD src1_sel:WORD_1
	v_mul_f16_sdwa v58, v49, v46 dst_sel:DWORD dst_unused:UNUSED_PAD src0_sel:DWORD src1_sel:WORD_1
	s_waitcnt vmcnt(1)
	v_mul_f16_sdwa v59, v55, v47 dst_sel:DWORD dst_unused:UNUSED_PAD src0_sel:DWORD src1_sel:WORD_1
	v_mul_f16_sdwa v60, v52, v47 dst_sel:DWORD dst_unused:UNUSED_PAD src0_sel:DWORD src1_sel:WORD_1
	;; [unrolled: 3-line block ×3, first 2 shown]
	v_fma_f16 v49, v49, v46, -v57
	v_fmac_f16_e32 v58, v54, v46
	v_fma_f16 v46, v52, v47, -v59
	v_fmac_f16_e32 v60, v55, v47
	;; [unrolled: 2-line block ×3, first 2 shown]
	v_pack_b32_f16 v48, v49, v58
	v_pack_b32_f16 v46, v46, v60
	;; [unrolled: 1-line block ×3, first 2 shown]
	ds_write_b32 v62, v48 offset:1080
	ds_write_b32 v62, v46 offset:2232
	ds_write_b32 v62, v47 offset:3384
.LBB0_17:
	s_or_b32 exec_lo, exec_lo, s1
	s_waitcnt lgkmcnt(0)
	s_barrier
	buffer_gl0_inv
	ds_read2_b32 v[58:59], v62 offset1:54
	ds_read2_b32 v[60:61], v51 offset0:88 offset1:160
	ds_read2_b32 v[54:55], v50 offset0:64 offset1:118
	;; [unrolled: 1-line block ×6, first 2 shown]
	ds_read_b32 v44, v62 offset:3168
	s_and_saveexec_b32 s1, vcc_lo
	s_cbranch_execz .LBB0_19
; %bb.18:
	ds_read_b32 v45, v62 offset:1080
	ds_read_b32 v95, v62 offset:2232
	;; [unrolled: 1-line block ×3, first 2 shown]
	s_waitcnt lgkmcnt(2)
	v_lshrrev_b32_e32 v94, 16, v45
	s_waitcnt lgkmcnt(1)
	v_lshrrev_b32_e32 v96, 16, v95
	s_waitcnt lgkmcnt(0)
	v_lshrrev_b32_e32 v98, 16, v97
.LBB0_19:
	s_or_b32 exec_lo, exec_lo, s1
	s_waitcnt lgkmcnt(0)
	v_pk_add_f16 v46, v51, v44
	v_pk_add_f16 v47, v51, v44 neg_lo:[0,1] neg_hi:[0,1]
	v_pk_add_f16 v51, v60, v51
	v_add_f16_e32 v105, v95, v45
	v_pk_add_f16 v99, v58, v61
	v_add_f16_e32 v103, v95, v97
	v_pk_fma_f16 v60, v46, 0.5, v60 op_sel_hi:[1,0,1] neg_lo:[1,0,0] neg_hi:[1,0,0]
	v_pk_add_f16 v46, v51, v44
	v_add_f16_e32 v51, v97, v105
	v_add_f16_e32 v105, v96, v98
	v_pk_add_f16 v106, v61, v54
	v_pk_add_f16 v61, v61, v54 neg_lo:[0,1] neg_hi:[0,1]
	v_fmac_f16_e32 v45, -0.5, v103
	v_sub_f16_e32 v103, v96, v98
	v_add_f16_e32 v96, v96, v94
	v_fmac_f16_e32 v94, -0.5, v105
	v_sub_f16_e32 v97, v95, v97
	v_pk_fma_f16 v58, v106, 0.5, v58 op_sel_hi:[1,0,1] neg_lo:[1,0,0] neg_hi:[1,0,0]
	v_pk_mul_f16 v61, 0x3aee, v61 op_sel_hi:[0,1]
	v_add_f16_e32 v96, v98, v96
	v_pk_add_f16 v54, v99, v54
	v_fmamk_f16 v95, v97, 0x3aee, v94
	v_fmac_f16_e32 v94, 0xbaee, v97
	v_pk_add_f16 v97, v58, v61 op_sel:[0,1] op_sel_hi:[1,0] neg_lo:[0,1] neg_hi:[0,1]
	v_pk_add_f16 v58, v58, v61 op_sel:[0,1] op_sel_hi:[1,0]
	v_pk_add_f16 v100, v59, v56
	v_pk_add_f16 v61, v56, v55
	v_pk_add_f16 v56, v56, v55 neg_lo:[0,1] neg_hi:[0,1]
	v_pk_add_f16 v101, v52, v57
	v_bfi_b32 v98, 0xffff, v97, v58
	s_barrier
	buffer_gl0_inv
	v_pk_fma_f16 v59, v61, 0.5, v59 op_sel_hi:[1,0,1] neg_lo:[1,0,0] neg_hi:[1,0,0]
	ds_write2_b32 v81, v54, v98 offset1:1
	v_bfi_b32 v54, 0xffff, v58, v97
	v_pk_add_f16 v58, v57, v48
	v_pk_add_f16 v57, v57, v48 neg_lo:[0,1] neg_hi:[0,1]
	v_pk_mul_f16 v56, 0x3aee, v56 op_sel_hi:[0,1]
	v_pk_add_f16 v102, v53, v50
	ds_write_b32 v81, v54 offset:8
	v_pk_fma_f16 v52, v58, 0.5, v52 op_sel_hi:[1,0,1] neg_lo:[1,0,0] neg_hi:[1,0,0]
	v_pk_mul_f16 v54, 0x3aee, v57 op_sel_hi:[0,1]
	v_pk_add_f16 v61, v59, v56 op_sel:[0,1] op_sel_hi:[1,0] neg_lo:[0,1] neg_hi:[0,1]
	v_pk_add_f16 v56, v59, v56 op_sel:[0,1] op_sel_hi:[1,0]
	v_pk_add_f16 v58, v50, v49
	v_pk_add_f16 v50, v50, v49 neg_lo:[0,1] neg_hi:[0,1]
	v_pk_add_f16 v59, v52, v54 op_sel:[0,1] op_sel_hi:[1,0] neg_lo:[0,1] neg_hi:[0,1]
	v_pk_add_f16 v52, v52, v54 op_sel:[0,1] op_sel_hi:[1,0]
	v_pk_add_f16 v55, v100, v55
	v_bfi_b32 v57, 0xffff, v61, v56
	v_pk_fma_f16 v53, v58, 0.5, v53 op_sel_hi:[1,0,1] neg_lo:[1,0,0] neg_hi:[1,0,0]
	v_pk_mul_f16 v50, 0x3aee, v50 op_sel_hi:[0,1]
	v_bfi_b32 v54, 0xffff, v56, v61
	v_pk_mul_f16 v104, 0x3aee, v47 op_sel_hi:[0,1]
	v_pk_add_f16 v48, v101, v48
	v_bfi_b32 v56, 0xffff, v59, v52
	ds_write2_b32 v80, v55, v57 offset1:1
	ds_write_b32 v80, v54 offset:8
	v_pk_add_f16 v54, v53, v50 op_sel:[0,1] op_sel_hi:[1,0] neg_lo:[0,1] neg_hi:[0,1]
	v_pk_add_f16 v53, v53, v50 op_sel:[0,1] op_sel_hi:[1,0]
	v_pk_add_f16 v47, v60, v104 op_sel:[0,1] op_sel_hi:[1,0] neg_lo:[0,1] neg_hi:[0,1]
	v_pk_add_f16 v50, v60, v104 op_sel:[0,1] op_sel_hi:[1,0]
	v_fmamk_f16 v44, v103, 0xbaee, v45
	v_fmac_f16_e32 v45, 0x3aee, v103
	ds_write2_b32 v83, v48, v56 offset1:1
	v_bfi_b32 v48, 0xffff, v52, v59
	v_pk_add_f16 v49, v102, v49
	v_bfi_b32 v52, 0xffff, v54, v53
	v_bfi_b32 v53, 0xffff, v53, v54
	;; [unrolled: 1-line block ×4, first 2 shown]
	ds_write_b32 v83, v48 offset:8
	ds_write2_b32 v85, v49, v52 offset1:1
	ds_write_b32 v85, v53 offset:8
	ds_write_b32 v87, v46
	ds_write2_b32 v87, v55, v54 offset0:1 offset1:2
	s_and_saveexec_b32 s1, vcc_lo
	s_cbranch_execz .LBB0_21
; %bb.20:
	v_lshlrev_b32_e32 v48, 2, v86
	v_perm_b32 v49, v95, v44, 0x5040100
	v_perm_b32 v52, v96, v51, 0x5040100
	;; [unrolled: 1-line block ×3, first 2 shown]
	ds_write2_b32 v48, v52, v49 offset1:1
	ds_write_b32 v48, v53 offset:8
.LBB0_21:
	s_or_b32 exec_lo, exec_lo, s1
	v_add_nc_u32_e32 v52, 0x400, v62
	v_add_nc_u32_e32 v53, 0x800, v62
	;; [unrolled: 1-line block ×3, first 2 shown]
	s_waitcnt lgkmcnt(0)
	s_barrier
	buffer_gl0_inv
	ds_read2_b32 v[48:49], v62 offset1:54
	ds_read2_b32 v[60:61], v62 offset0:144 offset1:198
	ds_read2_b32 v[58:59], v52 offset0:32 offset1:86
	;; [unrolled: 1-line block ×5, first 2 shown]
	v_lshrrev_b32_e32 v80, 16, v47
	v_lshrrev_b32_e32 v81, 16, v50
	s_and_saveexec_b32 s1, s0
	s_cbranch_execz .LBB0_23
; %bb.22:
	v_add_nc_u32_e32 v50, 0x600, v62
	ds_read2_b32 v[46:47], v62 offset0:108 offset1:252
	ds_read2_b32 v[44:45], v83 offset0:44 offset1:188
	ds_read2_b32 v[50:51], v50 offset0:12 offset1:156
	s_waitcnt lgkmcnt(2)
	v_lshrrev_b32_e32 v81, 16, v47
	s_waitcnt lgkmcnt(1)
	v_lshrrev_b32_e32 v95, 16, v44
	;; [unrolled: 2-line block ×3, first 2 shown]
	v_lshrrev_b32_e32 v96, 16, v51
	v_lshrrev_b32_e32 v94, 16, v45
.LBB0_23:
	s_or_b32 exec_lo, exec_lo, s1
	s_waitcnt lgkmcnt(4)
	v_lshrrev_b32_e32 v85, 16, v60
	s_waitcnt lgkmcnt(3)
	v_lshrrev_b32_e32 v86, 16, v58
	;; [unrolled: 2-line block ×3, first 2 shown]
	v_mul_f16_sdwa v105, v20, v60 dst_sel:DWORD dst_unused:UNUSED_PAD src0_sel:WORD_1 src1_sel:DWORD
	s_waitcnt lgkmcnt(1)
	v_lshrrev_b32_e32 v97, 16, v54
	v_mul_f16_sdwa v103, v20, v85 dst_sel:DWORD dst_unused:UNUSED_PAD src0_sel:WORD_1 src1_sel:DWORD
	s_waitcnt lgkmcnt(0)
	v_lshrrev_b32_e32 v98, 16, v52
	v_mul_f16_sdwa v107, v21, v86 dst_sel:DWORD dst_unused:UNUSED_PAD src0_sel:WORD_1 src1_sel:DWORD
	v_fma_f16 v85, v20, v85, -v105
	v_mul_f16_sdwa v105, v22, v87 dst_sel:DWORD dst_unused:UNUSED_PAD src0_sel:WORD_1 src1_sel:DWORD
	v_fmac_f16_e32 v103, v20, v60
	v_mul_f16_sdwa v60, v21, v58 dst_sel:DWORD dst_unused:UNUSED_PAD src0_sel:WORD_1 src1_sel:DWORD
	v_mul_f16_sdwa v20, v22, v56 dst_sel:DWORD dst_unused:UNUSED_PAD src0_sel:WORD_1 src1_sel:DWORD
	v_lshrrev_b32_e32 v100, 16, v61
	v_lshrrev_b32_e32 v101, 16, v59
	v_fmac_f16_e32 v107, v21, v58
	v_fma_f16 v58, v21, v86, -v60
	v_mul_f16_sdwa v60, v23, v97 dst_sel:DWORD dst_unused:UNUSED_PAD src0_sel:WORD_1 src1_sel:DWORD
	v_fmac_f16_e32 v105, v22, v56
	v_mul_f16_sdwa v21, v23, v54 dst_sel:DWORD dst_unused:UNUSED_PAD src0_sel:WORD_1 src1_sel:DWORD
	v_fma_f16 v56, v22, v87, -v20
	v_mul_f16_sdwa v86, v93, v98 dst_sel:DWORD dst_unused:UNUSED_PAD src0_sel:WORD_1 src1_sel:DWORD
	v_mul_f16_sdwa v20, v93, v52 dst_sel:DWORD dst_unused:UNUSED_PAD src0_sel:WORD_1 src1_sel:DWORD
	v_lshrrev_b32_e32 v102, 16, v57
	v_lshrrev_b32_e32 v104, 16, v55
	v_fmac_f16_e32 v60, v23, v54
	v_fma_f16 v54, v23, v97, -v21
	v_mul_f16_sdwa v87, v16, v100 dst_sel:DWORD dst_unused:UNUSED_PAD src0_sel:WORD_1 src1_sel:DWORD
	v_fmac_f16_e32 v86, v93, v52
	v_mul_f16_sdwa v21, v16, v61 dst_sel:DWORD dst_unused:UNUSED_PAD src0_sel:WORD_1 src1_sel:DWORD
	v_fma_f16 v52, v93, v98, -v20
	v_mul_f16_sdwa v93, v17, v101 dst_sel:DWORD dst_unused:UNUSED_PAD src0_sel:WORD_1 src1_sel:DWORD
	v_mul_f16_sdwa v20, v17, v59 dst_sel:DWORD dst_unused:UNUSED_PAD src0_sel:WORD_1 src1_sel:DWORD
	v_lshrrev_b32_e32 v106, 16, v53
	v_fmac_f16_e32 v87, v16, v61
	v_fma_f16 v16, v16, v100, -v21
	v_mul_f16_sdwa v61, v18, v102 dst_sel:DWORD dst_unused:UNUSED_PAD src0_sel:WORD_1 src1_sel:DWORD
	v_fmac_f16_e32 v93, v17, v59
	v_mul_f16_sdwa v21, v18, v57 dst_sel:DWORD dst_unused:UNUSED_PAD src0_sel:WORD_1 src1_sel:DWORD
	v_fma_f16 v17, v17, v101, -v20
	v_mul_f16_sdwa v59, v19, v104 dst_sel:DWORD dst_unused:UNUSED_PAD src0_sel:WORD_1 src1_sel:DWORD
	v_mul_f16_sdwa v20, v19, v55 dst_sel:DWORD dst_unused:UNUSED_PAD src0_sel:WORD_1 src1_sel:DWORD
	v_fmac_f16_e32 v61, v18, v57
	v_fma_f16 v57, v18, v102, -v21
	v_mul_f16_sdwa v97, v92, v106 dst_sel:DWORD dst_unused:UNUSED_PAD src0_sel:WORD_1 src1_sel:DWORD
	v_fmac_f16_e32 v59, v19, v55
	v_mul_f16_sdwa v21, v92, v53 dst_sel:DWORD dst_unused:UNUSED_PAD src0_sel:WORD_1 src1_sel:DWORD
	v_fma_f16 v55, v19, v104, -v20
	v_mul_f16_sdwa v18, v12, v81 dst_sel:DWORD dst_unused:UNUSED_PAD src0_sel:WORD_1 src1_sel:DWORD
	v_mul_f16_sdwa v20, v12, v47 dst_sel:DWORD dst_unused:UNUSED_PAD src0_sel:WORD_1 src1_sel:DWORD
	v_fmac_f16_e32 v97, v92, v53
	v_fma_f16 v53, v92, v106, -v21
	v_mul_f16_sdwa v19, v13, v80 dst_sel:DWORD dst_unused:UNUSED_PAD src0_sel:WORD_1 src1_sel:DWORD
	v_fmac_f16_e32 v18, v12, v47
	v_fma_f16 v21, v12, v81, -v20
	v_mul_f16_sdwa v12, v15, v95 dst_sel:DWORD dst_unused:UNUSED_PAD src0_sel:WORD_1 src1_sel:DWORD
	v_mul_f16_sdwa v47, v15, v44 dst_sel:DWORD dst_unused:UNUSED_PAD src0_sel:WORD_1 src1_sel:DWORD
	;; [unrolled: 1-line block ×5, first 2 shown]
	v_fmac_f16_e32 v12, v15, v44
	v_fma_f16 v44, v15, v95, -v47
	v_add_f16_e32 v15, v107, v60
	v_lshrrev_b32_e32 v83, 16, v48
	v_fmac_f16_e32 v19, v13, v50
	v_fma_f16 v22, v13, v80, -v22
	v_fmac_f16_e32 v20, v14, v51
	v_fma_f16 v23, v14, v96, -v23
	v_mul_f16_sdwa v13, v91, v94 dst_sel:DWORD dst_unused:UNUSED_PAD src0_sel:WORD_1 src1_sel:DWORD
	v_mul_f16_sdwa v14, v91, v45 dst_sel:DWORD dst_unused:UNUSED_PAD src0_sel:WORD_1 src1_sel:DWORD
	v_add_f16_e32 v47, v48, v107
	v_fma_f16 v15, -0.5, v15, v48
	v_sub_f16_e32 v48, v58, v54
	v_fmac_f16_e32 v13, v91, v45
	v_fma_f16 v45, v91, v94, -v14
	v_add_f16_e32 v14, v58, v54
	v_add_f16_e32 v47, v47, v60
	v_fmamk_f16 v51, v48, 0xbaee, v15
	v_fmac_f16_e32 v15, 0x3aee, v48
	v_add_f16_e32 v48, v56, v52
	v_add_f16_e32 v50, v83, v58
	v_fmac_f16_e32 v83, -0.5, v14
	v_sub_f16_e32 v14, v107, v60
	v_add_f16_e32 v58, v105, v86
	v_add_f16_e32 v60, v85, v56
	v_fmac_f16_e32 v85, -0.5, v48
	v_sub_f16_e32 v48, v105, v86
	v_add_f16_e32 v50, v50, v54
	v_fmamk_f16 v54, v14, 0x3aee, v83
	v_add_f16_e32 v80, v103, v105
	v_fmac_f16_e32 v103, -0.5, v58
	v_sub_f16_e32 v56, v56, v52
	v_fmac_f16_e32 v83, 0xbaee, v14
	v_fmamk_f16 v14, v48, 0x3aee, v85
	v_fmac_f16_e32 v85, 0xbaee, v48
	v_add_f16_e32 v48, v80, v86
	v_fmamk_f16 v58, v56, 0xbaee, v103
	v_fmac_f16_e32 v103, 0x3aee, v56
	v_mul_f16_e32 v56, 0xbaee, v14
	v_mul_f16_e32 v80, 0xbaee, v85
	v_mul_f16_e32 v14, 0.5, v14
	v_lshrrev_b32_e32 v99, 16, v49
	v_add_f16_e32 v81, v47, v48
	v_sub_f16_e32 v94, v47, v48
	v_fmac_f16_e32 v80, -0.5, v103
	v_fmac_f16_e32 v14, 0x3aee, v58
	v_add_f16_e32 v47, v93, v59
	v_add_f16_e32 v52, v60, v52
	v_mul_f16_e32 v60, -0.5, v85
	v_add_f16_e32 v85, v15, v80
	v_add_f16_e32 v91, v54, v14
	v_sub_f16_e32 v80, v15, v80
	v_sub_f16_e32 v96, v54, v14
	v_add_f16_e32 v14, v49, v93
	v_fmac_f16_e32 v49, -0.5, v47
	v_sub_f16_e32 v15, v17, v55
	v_add_f16_e32 v47, v99, v17
	v_fmac_f16_e32 v56, 0.5, v58
	v_add_f16_e32 v86, v50, v52
	v_sub_f16_e32 v95, v50, v52
	v_fmamk_f16 v48, v15, 0xbaee, v49
	v_fmac_f16_e32 v49, 0x3aee, v15
	v_add_f16_e32 v15, v47, v55
	v_add_f16_e32 v47, v57, v53
	;; [unrolled: 1-line block ×3, first 2 shown]
	v_sub_f16_e32 v56, v51, v56
	v_add_f16_e32 v17, v17, v55
	v_add_f16_e32 v50, v61, v97
	;; [unrolled: 1-line block ×3, first 2 shown]
	v_fmac_f16_e32 v16, -0.5, v47
	v_sub_f16_e32 v47, v61, v97
	v_fmac_f16_e32 v99, -0.5, v17
	v_sub_f16_e32 v17, v93, v59
	v_add_f16_e32 v54, v87, v61
	v_fmac_f16_e32 v87, -0.5, v50
	v_sub_f16_e32 v50, v57, v53
	v_fmamk_f16 v55, v47, 0x3aee, v16
	v_fmac_f16_e32 v16, 0xbaee, v47
	v_fmac_f16_e32 v60, 0x3aee, v103
	v_fmamk_f16 v52, v17, 0x3aee, v99
	v_fmac_f16_e32 v99, 0xbaee, v17
	v_add_f16_e32 v17, v54, v97
	v_fmamk_f16 v47, v50, 0xbaee, v87
	v_mul_f16_e32 v54, 0xbaee, v55
	v_fmac_f16_e32 v87, 0x3aee, v50
	v_mul_f16_e32 v50, 0xbaee, v16
	v_add_f16_e32 v51, v51, v53
	v_mul_f16_e32 v53, 0.5, v55
	v_mul_f16_e32 v16, -0.5, v16
	v_add_f16_e32 v92, v83, v60
	v_sub_f16_e32 v60, v83, v60
	v_add_f16_e32 v14, v14, v59
	v_fmac_f16_e32 v54, 0.5, v47
	v_fmac_f16_e32 v50, -0.5, v87
	v_fmac_f16_e32 v53, 0x3aee, v47
	v_fmac_f16_e32 v16, 0x3aee, v87
	v_add_f16_e32 v83, v15, v51
	v_add_f16_e32 v47, v12, v19
	v_sub_f16_e32 v101, v15, v51
	v_add_f16_e32 v15, v45, v23
	v_add_f16_e32 v57, v14, v17
	;; [unrolled: 1-line block ×5, first 2 shown]
	v_sub_f16_e32 v97, v14, v17
	v_sub_f16_e32 v98, v48, v54
	;; [unrolled: 1-line block ×3, first 2 shown]
	v_fma_f16 v47, -0.5, v47, v46
	v_sub_f16_e32 v14, v22, v44
	v_sub_f16_e32 v99, v99, v16
	v_add_f16_e32 v16, v44, v22
	v_add_f16_e32 v17, v13, v20
	v_lshrrev_b32_e32 v54, 16, v46
	v_fma_f16 v15, -0.5, v15, v21
	v_sub_f16_e32 v49, v20, v13
	v_fmamk_f16 v48, v14, 0xbaee, v47
	v_fmac_f16_e32 v47, 0x3aee, v14
	v_fma_f16 v14, -0.5, v17, v18
	v_sub_f16_e32 v17, v23, v45
	v_fma_f16 v51, -0.5, v16, v54
	v_fmamk_f16 v16, v49, 0x3aee, v15
	v_fmac_f16_e32 v15, 0xbaee, v49
	v_add_f16_e32 v87, v52, v53
	v_sub_f16_e32 v102, v52, v53
	v_sub_f16_e32 v103, v19, v12
	v_fmamk_f16 v104, v17, 0xbaee, v14
	v_fmac_f16_e32 v14, 0x3aee, v17
	v_mul_f16_e32 v49, 0xbaee, v16
	v_mul_f16_e32 v50, 0xbaee, v15
	v_mul_f16_e32 v52, 0.5, v16
	v_mul_f16_e32 v55, -0.5, v15
	v_fmamk_f16 v53, v103, 0x3aee, v51
	v_fmac_f16_e32 v49, 0.5, v104
	v_fmac_f16_e32 v50, -0.5, v14
	v_fmac_f16_e32 v52, 0x3aee, v104
	v_fmac_f16_e32 v51, 0xbaee, v103
	;; [unrolled: 1-line block ×3, first 2 shown]
	v_pack_b32_f16 v81, v81, v86
	v_pack_b32_f16 v58, v58, v91
	v_sub_f16_e32 v14, v48, v49
	v_sub_f16_e32 v15, v47, v50
	;; [unrolled: 1-line block ×4, first 2 shown]
	s_barrier
	buffer_gl0_inv
	ds_write2_b32 v89, v81, v58 offset1:3
	v_pack_b32_f16 v58, v85, v92
	v_pack_b32_f16 v81, v94, v95
	;; [unrolled: 1-line block ×10, first 2 shown]
	ds_write2_b32 v89, v58, v81 offset0:6 offset1:9
	ds_write2_b32 v89, v56, v60 offset0:12 offset1:15
	ds_write2_b32 v88, v57, v59 offset1:3
	ds_write2_b32 v88, v61, v80 offset0:6 offset1:9
	ds_write2_b32 v88, v83, v85 offset0:12 offset1:15
	s_and_saveexec_b32 s1, s0
	s_cbranch_execz .LBB0_25
; %bb.24:
	v_add_f16_e32 v22, v22, v54
	v_add_f16_e32 v21, v23, v21
	;; [unrolled: 1-line block ×4, first 2 shown]
	v_mov_b32_e32 v23, 18
	v_add_f16_e32 v20, v44, v22
	v_add_f16_e32 v21, v45, v21
	;; [unrolled: 1-line block ×6, first 2 shown]
	v_sub_f16_e32 v18, v20, v21
	v_add_f16_e32 v20, v20, v21
	v_mul_u32_u24_sdwa v21, v82, v23 dst_sel:DWORD dst_unused:UNUSED_PAD src0_sel:WORD_0 src1_sel:DWORD
	v_add_f16_e32 v23, v12, v13
	v_add_f16_e32 v22, v51, v55
	;; [unrolled: 1-line block ×3, first 2 shown]
	v_sub_f16_e32 v12, v12, v13
	v_add_lshl_u32 v13, v21, v84, 2
	v_pack_b32_f16 v20, v23, v20
	v_pack_b32_f16 v19, v44, v19
	;; [unrolled: 1-line block ×4, first 2 shown]
	v_perm_b32 v18, v16, v14, 0x5040100
	v_perm_b32 v22, v17, v15, 0x5040100
	ds_write2_b32 v13, v20, v19 offset1:3
	ds_write2_b32 v13, v21, v12 offset0:6 offset1:9
	ds_write2_b32 v13, v18, v22 offset0:12 offset1:15
.LBB0_25:
	s_or_b32 exec_lo, exec_lo, s1
	s_waitcnt lgkmcnt(0)
	s_barrier
	buffer_gl0_inv
	ds_read2_b32 v[12:13], v62 offset1:54
	v_add_nc_u32_e32 v23, 0x200, v62
	ds_read2_b32 v[21:22], v62 offset0:108 offset1:162
	ds_read2_b32 v[44:45], v23 offset0:88 offset1:142
	v_add_nc_u32_e32 v18, 0x400, v62
	ds_read2_b32 v[46:47], v18 offset0:68 offset1:122
	ds_read2_b32 v[48:49], v18 offset0:176 offset1:230
	v_add_nc_u32_e32 v19, 0x800, v62
	v_add_nc_u32_e32 v20, 0xa00, v62
	ds_read2_b32 v[50:51], v19 offset0:28 offset1:82
	ds_read2_b32 v[52:53], v19 offset0:136 offset1:190
	;; [unrolled: 1-line block ×3, first 2 shown]
	s_waitcnt lgkmcnt(0)
	s_barrier
	v_lshrrev_b32_e32 v57, 16, v13
	v_mul_f16_sdwa v92, v8, v13 dst_sel:DWORD dst_unused:UNUSED_PAD src0_sel:WORD_1 src1_sel:DWORD
	v_lshrrev_b32_e32 v56, 16, v12
	buffer_gl0_inv
	v_lshrrev_b32_e32 v58, 16, v21
	v_lshrrev_b32_e32 v59, 16, v22
	v_mul_f16_sdwa v88, v8, v57 dst_sel:DWORD dst_unused:UNUSED_PAD src0_sel:WORD_1 src1_sel:DWORD
	v_lshrrev_b32_e32 v60, 16, v44
	v_lshrrev_b32_e32 v61, 16, v45
	v_mul_f16_sdwa v93, v9, v58 dst_sel:DWORD dst_unused:UNUSED_PAD src0_sel:WORD_1 src1_sel:DWORD
	v_mul_f16_sdwa v94, v10, v59 dst_sel:DWORD dst_unused:UNUSED_PAD src0_sel:WORD_1 src1_sel:DWORD
	v_fmac_f16_e32 v88, v8, v13
	v_mul_f16_sdwa v13, v9, v21 dst_sel:DWORD dst_unused:UNUSED_PAD src0_sel:WORD_1 src1_sel:DWORD
	v_lshrrev_b32_e32 v80, 16, v46
	v_fmac_f16_e32 v93, v9, v21
	v_mul_f16_sdwa v21, v10, v22 dst_sel:DWORD dst_unused:UNUSED_PAD src0_sel:WORD_1 src1_sel:DWORD
	v_fmac_f16_e32 v94, v10, v22
	v_fma_f16 v9, v9, v58, -v13
	v_mul_f16_sdwa v13, v11, v60 dst_sel:DWORD dst_unused:UNUSED_PAD src0_sel:WORD_1 src1_sel:DWORD
	v_mul_f16_sdwa v22, v11, v44 dst_sel:DWORD dst_unused:UNUSED_PAD src0_sel:WORD_1 src1_sel:DWORD
	v_lshrrev_b32_e32 v81, 16, v47
	v_lshrrev_b32_e32 v82, 16, v48
	v_fma_f16 v8, v8, v57, -v92
	v_fma_f16 v10, v10, v59, -v21
	v_mul_f16_sdwa v21, v4, v61 dst_sel:DWORD dst_unused:UNUSED_PAD src0_sel:WORD_1 src1_sel:DWORD
	v_mul_f16_sdwa v57, v4, v45 dst_sel:DWORD dst_unused:UNUSED_PAD src0_sel:WORD_1 src1_sel:DWORD
	v_fmac_f16_e32 v13, v11, v44
	v_fma_f16 v11, v11, v60, -v22
	v_mul_f16_sdwa v22, v5, v80 dst_sel:DWORD dst_unused:UNUSED_PAD src0_sel:WORD_1 src1_sel:DWORD
	v_mul_f16_sdwa v44, v5, v46 dst_sel:DWORD dst_unused:UNUSED_PAD src0_sel:WORD_1 src1_sel:DWORD
	v_lshrrev_b32_e32 v83, 16, v49
	v_lshrrev_b32_e32 v84, 16, v50
	v_fmac_f16_e32 v21, v4, v45
	v_fma_f16 v4, v4, v61, -v57
	v_mul_f16_sdwa v45, v6, v81 dst_sel:DWORD dst_unused:UNUSED_PAD src0_sel:WORD_1 src1_sel:DWORD
	v_fmac_f16_e32 v22, v5, v46
	v_mul_f16_sdwa v46, v6, v47 dst_sel:DWORD dst_unused:UNUSED_PAD src0_sel:WORD_1 src1_sel:DWORD
	v_mul_f16_sdwa v57, v7, v82 dst_sel:DWORD dst_unused:UNUSED_PAD src0_sel:WORD_1 src1_sel:DWORD
	v_fma_f16 v5, v5, v80, -v44
	v_mul_f16_sdwa v44, v7, v48 dst_sel:DWORD dst_unused:UNUSED_PAD src0_sel:WORD_1 src1_sel:DWORD
	v_lshrrev_b32_e32 v86, 16, v52
	v_fmac_f16_e32 v45, v6, v47
	v_fma_f16 v6, v6, v81, -v46
	v_fmac_f16_e32 v57, v7, v48
	v_mul_f16_sdwa v46, v0, v83 dst_sel:DWORD dst_unused:UNUSED_PAD src0_sel:WORD_1 src1_sel:DWORD
	v_fma_f16 v7, v7, v82, -v44
	v_mul_f16_sdwa v44, v1, v84 dst_sel:DWORD dst_unused:UNUSED_PAD src0_sel:WORD_1 src1_sel:DWORD
	v_lshrrev_b32_e32 v85, 16, v51
	v_lshrrev_b32_e32 v89, 16, v54
	v_mul_f16_sdwa v47, v0, v49 dst_sel:DWORD dst_unused:UNUSED_PAD src0_sel:WORD_1 src1_sel:DWORD
	v_mul_f16_sdwa v48, v1, v50 dst_sel:DWORD dst_unused:UNUSED_PAD src0_sel:WORD_1 src1_sel:DWORD
	v_fmac_f16_e32 v46, v0, v49
	v_fmac_f16_e32 v44, v1, v50
	v_mul_f16_sdwa v49, v3, v86 dst_sel:DWORD dst_unused:UNUSED_PAD src0_sel:WORD_1 src1_sel:DWORD
	v_mul_f16_sdwa v50, v3, v52 dst_sel:DWORD dst_unused:UNUSED_PAD src0_sel:WORD_1 src1_sel:DWORD
	v_lshrrev_b32_e32 v87, 16, v53
	v_fma_f16 v0, v0, v83, -v47
	v_mul_f16_sdwa v47, v2, v85 dst_sel:DWORD dst_unused:UNUSED_PAD src0_sel:WORD_1 src1_sel:DWORD
	v_fma_f16 v1, v1, v84, -v48
	v_mul_f16_sdwa v48, v2, v51 dst_sel:DWORD dst_unused:UNUSED_PAD src0_sel:WORD_1 src1_sel:DWORD
	v_fmac_f16_e32 v49, v3, v52
	v_fma_f16 v3, v3, v86, -v50
	v_mul_f16_sdwa v50, v25, v89 dst_sel:DWORD dst_unused:UNUSED_PAD src0_sel:WORD_1 src1_sel:DWORD
	v_mul_f16_sdwa v52, v25, v54 dst_sel:DWORD dst_unused:UNUSED_PAD src0_sel:WORD_1 src1_sel:DWORD
	v_lshrrev_b32_e32 v91, 16, v55
	v_fmac_f16_e32 v47, v2, v51
	v_mul_f16_sdwa v51, v24, v87 dst_sel:DWORD dst_unused:UNUSED_PAD src0_sel:WORD_1 src1_sel:DWORD
	v_fma_f16 v2, v2, v85, -v48
	v_mul_f16_sdwa v48, v24, v53 dst_sel:DWORD dst_unused:UNUSED_PAD src0_sel:WORD_1 src1_sel:DWORD
	v_fmac_f16_e32 v50, v25, v54
	v_fma_f16 v25, v25, v89, -v52
	v_fmac_f16_e32 v51, v24, v53
	v_mul_f16_sdwa v53, v26, v55 dst_sel:DWORD dst_unused:UNUSED_PAD src0_sel:WORD_1 src1_sel:DWORD
	v_fma_f16 v24, v24, v87, -v48
	v_mul_f16_sdwa v48, v26, v91 dst_sel:DWORD dst_unused:UNUSED_PAD src0_sel:WORD_1 src1_sel:DWORD
	v_sub_f16_e32 v52, v12, v57
	v_sub_f16_e32 v7, v56, v7
	;; [unrolled: 1-line block ×8, first 2 shown]
	v_fmac_f16_e32 v48, v26, v55
	v_fma_f16 v26, v26, v91, -v53
	v_fma_f16 v12, v12, 2.0, -v52
	v_fma_f16 v53, v56, 2.0, -v7
	;; [unrolled: 1-line block ×8, first 2 shown]
	v_add_f16_e32 v3, v52, v3
	v_add_f16_e32 v25, v44, v25
	v_sub_f16_e32 v46, v88, v46
	v_sub_f16_e32 v51, v21, v51
	;; [unrolled: 1-line block ×10, first 2 shown]
	v_fma_f16 v52, v52, 2.0, -v3
	v_sub_f16_e32 v5, v9, v5
	v_sub_f16_e32 v50, v1, v50
	v_fma_f16 v44, v44, 2.0, -v25
	v_sub_f16_e32 v0, v8, v0
	v_fma_f16 v55, v88, 2.0, -v46
	v_fma_f16 v21, v21, 2.0, -v51
	v_sub_f16_e32 v2, v10, v2
	v_fma_f16 v4, v4, 2.0, -v24
	v_fma_f16 v56, v94, 2.0, -v47
	v_fma_f16 v45, v45, 2.0, -v48
	v_fma_f16 v6, v6, 2.0, -v26
	v_fma_f16 v12, v12, 2.0, -v13
	v_fma_f16 v53, v53, 2.0, -v11
	v_fma_f16 v7, v7, 2.0, -v49
	v_fma_f16 v54, v54, 2.0, -v22
	v_fma_f16 v9, v9, 2.0, -v5
	v_fma_f16 v1, v1, 2.0, -v50
	v_add_f16_e32 v24, v46, v24
	v_add_f16_e32 v26, v47, v26
	v_fmamk_f16 v57, v44, 0xb9a8, v52
	v_sub_f16_e32 v21, v55, v21
	v_sub_f16_e32 v51, v0, v51
	;; [unrolled: 1-line block ×3, first 2 shown]
	v_fma_f16 v46, v46, 2.0, -v24
	v_sub_f16_e32 v48, v2, v48
	v_fma_f16 v47, v47, 2.0, -v26
	v_sub_f16_e32 v54, v12, v54
	v_sub_f16_e32 v9, v53, v9
	v_fmamk_f16 v58, v1, 0xb9a8, v7
	v_fmac_f16_e32 v57, 0x39a8, v1
	v_fma_f16 v8, v8, 2.0, -v0
	v_fma_f16 v10, v10, 2.0, -v2
	;; [unrolled: 1-line block ×8, first 2 shown]
	v_fmac_f16_e32 v58, 0xb9a8, v44
	v_fma_f16 v44, v52, 2.0, -v57
	v_fmamk_f16 v52, v25, 0x39a8, v3
	v_sub_f16_e32 v53, v11, v22
	v_fmamk_f16 v59, v50, 0x39a8, v49
	v_fmamk_f16 v22, v47, 0xb9a8, v46
	v_sub_f16_e32 v6, v10, v6
	v_fmac_f16_e32 v52, 0x39a8, v50
	v_fmamk_f16 v50, v1, 0xb9a8, v0
	v_fmac_f16_e32 v59, 0xb9a8, v25
	v_sub_f16_e32 v25, v55, v56
	v_fmac_f16_e32 v22, 0x39a8, v1
	v_sub_f16_e32 v4, v8, v4
	v_fma_f16 v10, v10, 2.0, -v6
	v_add_f16_e32 v5, v13, v5
	v_fma_f16 v1, v49, 2.0, -v59
	v_fma_f16 v49, v55, 2.0, -v25
	v_fmac_f16_e32 v50, 0xb9a8, v47
	v_fma_f16 v46, v46, 2.0, -v22
	v_fmamk_f16 v47, v26, 0x39a8, v24
	v_add_f16_e32 v6, v21, v6
	v_fmamk_f16 v55, v48, 0x39a8, v51
	v_fma_f16 v7, v7, 2.0, -v58
	v_fma_f16 v13, v13, 2.0, -v5
	v_sub_f16_e32 v45, v4, v45
	v_fma_f16 v0, v0, 2.0, -v50
	v_fmac_f16_e32 v47, 0x39a8, v48
	v_fma_f16 v21, v21, 2.0, -v6
	v_fmac_f16_e32 v55, 0xb9a8, v26
	v_fmamk_f16 v48, v46, 0xbb64, v44
	v_fma_f16 v8, v8, 2.0, -v4
	v_fma_f16 v11, v11, 2.0, -v53
	;; [unrolled: 1-line block ×4, first 2 shown]
	v_sub_f16_e32 v26, v2, v49
	v_fma_f16 v24, v24, 2.0, -v47
	v_fma_f16 v49, v51, 2.0, -v55
	v_fmamk_f16 v51, v0, 0xbb64, v7
	v_fmac_f16_e32 v48, 0x361f, v0
	v_fmamk_f16 v0, v21, 0xb9a8, v13
	v_sub_f16_e32 v10, v8, v10
	v_fmamk_f16 v56, v4, 0xb9a8, v11
	v_fmac_f16_e32 v51, 0xb61f, v46
	v_fmamk_f16 v46, v24, 0xb61f, v3
	v_fmac_f16_e32 v0, 0x39a8, v4
	v_fmamk_f16 v4, v49, 0xb61f, v1
	v_fma_f16 v8, v8, 2.0, -v10
	v_fmac_f16_e32 v56, 0xb9a8, v21
	v_fmac_f16_e32 v46, 0x3b64, v49
	v_fmamk_f16 v49, v50, 0x361f, v58
	v_fmac_f16_e32 v4, 0xbb64, v24
	v_sub_f16_e32 v24, v9, v25
	v_fmamk_f16 v25, v22, 0x361f, v57
	v_sub_f16_e32 v8, v12, v8
	v_fmac_f16_e32 v49, 0xbb64, v22
	v_fmamk_f16 v60, v45, 0x39a8, v53
	v_fmamk_f16 v21, v47, 0x3b64, v52
	v_fmac_f16_e32 v25, 0x3b64, v50
	v_fmamk_f16 v50, v6, 0x39a8, v5
	v_fmamk_f16 v22, v55, 0x3b64, v59
	v_add_f16_e32 v10, v54, v10
	v_fma_f16 v2, v2, 2.0, -v26
	v_fma_f16 v12, v12, 2.0, -v8
	v_fma_f16 v44, v44, 2.0, -v48
	v_fma_f16 v7, v7, 2.0, -v51
	v_fmac_f16_e32 v50, 0x39a8, v45
	v_fmac_f16_e32 v60, 0xb9a8, v6
	;; [unrolled: 1-line block ×4, first 2 shown]
	v_fma_f16 v13, v13, 2.0, -v0
	v_fma_f16 v11, v11, 2.0, -v56
	;; [unrolled: 1-line block ×12, first 2 shown]
	v_pack_b32_f16 v2, v2, v12
	v_pack_b32_f16 v7, v44, v7
	;; [unrolled: 1-line block ×6, first 2 shown]
	ds_write2_b32 v90, v2, v7 offset1:18
	ds_write2_b32 v90, v11, v1 offset0:36 offset1:54
	ds_write2_b32 v90, v3, v6 offset0:72 offset1:90
	v_pack_b32_f16 v1, v5, v45
	v_pack_b32_f16 v2, v47, v52
	;; [unrolled: 1-line block ×10, first 2 shown]
	v_add_nc_u32_e32 v10, 0x200, v90
	ds_write2_b32 v90, v1, v2 offset0:108 offset1:126
	ds_write2_b32 v90, v3, v5 offset0:144 offset1:162
	;; [unrolled: 1-line block ×5, first 2 shown]
	s_waitcnt lgkmcnt(0)
	s_barrier
	buffer_gl0_inv
	ds_read2_b32 v[2:3], v62 offset1:54
	ds_read2_b32 v[0:1], v23 offset0:88 offset1:160
	ds_read2_b32 v[12:13], v19 offset0:64 offset1:118
	;; [unrolled: 1-line block ×6, first 2 shown]
	ds_read_b32 v23, v62 offset:3168
	s_and_saveexec_b32 s0, vcc_lo
	s_cbranch_execz .LBB0_27
; %bb.26:
	ds_read_b32 v21, v62 offset:1080
	ds_read_b32 v14, v62 offset:2232
	;; [unrolled: 1-line block ×3, first 2 shown]
	s_waitcnt lgkmcnt(2)
	v_lshrrev_b32_e32 v22, 16, v21
	s_waitcnt lgkmcnt(1)
	v_lshrrev_b32_e32 v16, 16, v14
	;; [unrolled: 2-line block ×3, first 2 shown]
.LBB0_27:
	s_or_b32 exec_lo, exec_lo, s0
	s_waitcnt lgkmcnt(6)
	v_lshrrev_b32_e32 v25, 16, v1
	s_waitcnt lgkmcnt(5)
	v_lshrrev_b32_e32 v26, 16, v12
	;; [unrolled: 2-line block ×3, first 2 shown]
	v_mul_f16_sdwa v56, v42, v1 dst_sel:DWORD dst_unused:UNUSED_PAD src0_sel:WORD_1 src1_sel:DWORD
	v_lshrrev_b32_e32 v46, 16, v13
	v_mul_f16_sdwa v54, v42, v25 dst_sel:DWORD dst_unused:UNUSED_PAD src0_sel:WORD_1 src1_sel:DWORD
	v_mul_f16_sdwa v58, v43, v26 dst_sel:DWORD dst_unused:UNUSED_PAD src0_sel:WORD_1 src1_sel:DWORD
	v_lshrrev_b32_e32 v48, 16, v11
	v_fma_f16 v25, v42, v25, -v56
	s_waitcnt lgkmcnt(2)
	v_lshrrev_b32_e32 v49, 16, v8
	v_fmac_f16_e32 v54, v42, v1
	v_mul_f16_sdwa v1, v43, v12 dst_sel:DWORD dst_unused:UNUSED_PAD src0_sel:WORD_1 src1_sel:DWORD
	v_mul_f16_sdwa v42, v40, v45 dst_sel:DWORD dst_unused:UNUSED_PAD src0_sel:WORD_1 src1_sel:DWORD
	v_fmac_f16_e32 v58, v43, v12
	v_mul_f16_sdwa v12, v40, v10 dst_sel:DWORD dst_unused:UNUSED_PAD src0_sel:WORD_1 src1_sel:DWORD
	s_waitcnt lgkmcnt(1)
	v_lshrrev_b32_e32 v51, 16, v6
	v_fma_f16 v1, v43, v26, -v1
	v_mul_f16_sdwa v26, v41, v46 dst_sel:DWORD dst_unused:UNUSED_PAD src0_sel:WORD_1 src1_sel:DWORD
	v_fmac_f16_e32 v42, v40, v10
	v_mul_f16_sdwa v10, v41, v13 dst_sel:DWORD dst_unused:UNUSED_PAD src0_sel:WORD_1 src1_sel:DWORD
	v_fma_f16 v12, v40, v45, -v12
	v_mul_f16_sdwa v40, v38, v48 dst_sel:DWORD dst_unused:UNUSED_PAD src0_sel:WORD_1 src1_sel:DWORD
	v_fmac_f16_e32 v26, v41, v13
	v_mul_f16_sdwa v13, v38, v11 dst_sel:DWORD dst_unused:UNUSED_PAD src0_sel:WORD_1 src1_sel:DWORD
	v_fma_f16 v10, v41, v46, -v10
	v_mul_f16_sdwa v41, v39, v49 dst_sel:DWORD dst_unused:UNUSED_PAD src0_sel:WORD_1 src1_sel:DWORD
	v_lshrrev_b32_e32 v52, 16, v9
	v_fmac_f16_e32 v40, v38, v11
	v_mul_f16_sdwa v11, v39, v8 dst_sel:DWORD dst_unused:UNUSED_PAD src0_sel:WORD_1 src1_sel:DWORD
	v_lshrrev_b32_e32 v55, 16, v7
	v_fma_f16 v13, v38, v48, -v13
	v_mul_f16_sdwa v38, v36, v51 dst_sel:DWORD dst_unused:UNUSED_PAD src0_sel:WORD_1 src1_sel:DWORD
	v_fmac_f16_e32 v41, v39, v8
	v_mul_f16_sdwa v8, v36, v6 dst_sel:DWORD dst_unused:UNUSED_PAD src0_sel:WORD_1 src1_sel:DWORD
	v_fma_f16 v11, v39, v49, -v11
	v_mul_f16_sdwa v39, v37, v52 dst_sel:DWORD dst_unused:UNUSED_PAD src0_sel:WORD_1 src1_sel:DWORD
	s_waitcnt lgkmcnt(0)
	v_lshrrev_b32_e32 v57, 16, v23
	v_fmac_f16_e32 v38, v36, v6
	v_mul_f16_sdwa v6, v37, v9 dst_sel:DWORD dst_unused:UNUSED_PAD src0_sel:WORD_1 src1_sel:DWORD
	v_fma_f16 v8, v36, v51, -v8
	v_mul_f16_sdwa v36, v34, v55 dst_sel:DWORD dst_unused:UNUSED_PAD src0_sel:WORD_1 src1_sel:DWORD
	v_fmac_f16_e32 v39, v37, v9
	v_mul_f16_sdwa v9, v34, v7 dst_sel:DWORD dst_unused:UNUSED_PAD src0_sel:WORD_1 src1_sel:DWORD
	v_fma_f16 v6, v37, v52, -v6
	v_mul_f16_sdwa v37, v35, v57 dst_sel:DWORD dst_unused:UNUSED_PAD src0_sel:WORD_1 src1_sel:DWORD
	v_fmac_f16_e32 v36, v34, v7
	v_mul_f16_sdwa v7, v35, v23 dst_sel:DWORD dst_unused:UNUSED_PAD src0_sel:WORD_1 src1_sel:DWORD
	v_lshrrev_b32_e32 v24, 16, v2
	v_fma_f16 v9, v34, v55, -v9
	v_add_f16_e32 v34, v54, v58
	v_fmac_f16_e32 v37, v35, v23
	v_fma_f16 v7, v35, v57, -v7
	v_add_f16_e32 v35, v25, v1
	v_add_f16_e32 v23, v2, v54
	v_fma_f16 v2, -0.5, v34, v2
	v_sub_f16_e32 v34, v25, v1
	v_add_f16_e32 v25, v24, v25
	v_fmac_f16_e32 v24, -0.5, v35
	v_sub_f16_e32 v35, v54, v58
	v_lshrrev_b32_e32 v44, 16, v3
	v_fmamk_f16 v43, v34, 0xbaee, v2
	v_add_f16_e32 v1, v25, v1
	v_add_f16_e32 v25, v42, v26
	v_fmac_f16_e32 v2, 0x3aee, v34
	v_fmamk_f16 v34, v35, 0x3aee, v24
	v_add_f16_e32 v45, v3, v42
	v_fmac_f16_e32 v24, 0xbaee, v35
	v_add_f16_e32 v35, v12, v10
	v_fmac_f16_e32 v3, -0.5, v25
	v_sub_f16_e32 v25, v12, v10
	v_add_f16_e32 v12, v44, v12
	v_add_f16_e32 v45, v45, v26
	v_fmac_f16_e32 v44, -0.5, v35
	v_sub_f16_e32 v26, v42, v26
	v_lshrrev_b32_e32 v47, 16, v4
	v_add_f16_e32 v10, v12, v10
	v_add_f16_e32 v12, v40, v41
	v_fmamk_f16 v35, v25, 0xbaee, v3
	v_fmac_f16_e32 v3, 0x3aee, v25
	v_fmamk_f16 v25, v26, 0x3aee, v44
	v_fmac_f16_e32 v44, 0xbaee, v26
	v_add_f16_e32 v26, v13, v11
	v_add_f16_e32 v42, v4, v40
	v_fma_f16 v4, -0.5, v12, v4
	v_sub_f16_e32 v12, v13, v11
	v_add_f16_e32 v13, v47, v13
	v_fmac_f16_e32 v47, -0.5, v26
	v_sub_f16_e32 v26, v40, v41
	v_lshrrev_b32_e32 v50, 16, v5
	v_fmamk_f16 v40, v12, 0xbaee, v4
	v_fmac_f16_e32 v4, 0x3aee, v12
	v_add_f16_e32 v12, v38, v39
	v_add_f16_e32 v11, v13, v11
	v_fmamk_f16 v13, v26, 0x3aee, v47
	v_fmac_f16_e32 v47, 0xbaee, v26
	v_add_f16_e32 v26, v8, v6
	v_add_f16_e32 v42, v42, v41
	;; [unrolled: 1-line block ×3, first 2 shown]
	v_fmac_f16_e32 v5, -0.5, v12
	v_sub_f16_e32 v12, v8, v6
	v_add_f16_e32 v8, v50, v8
	v_fmac_f16_e32 v50, -0.5, v26
	v_sub_f16_e32 v26, v38, v39
	v_lshrrev_b32_e32 v53, 16, v0
	v_fmamk_f16 v38, v12, 0xbaee, v5
	v_add_f16_e32 v6, v8, v6
	v_add_f16_e32 v8, v36, v37
	v_fmac_f16_e32 v5, 0x3aee, v12
	v_fmamk_f16 v12, v26, 0x3aee, v50
	v_fmac_f16_e32 v50, 0xbaee, v26
	v_add_f16_e32 v26, v9, v7
	v_add_f16_e32 v41, v41, v39
	;; [unrolled: 1-line block ×3, first 2 shown]
	v_fmac_f16_e32 v0, -0.5, v8
	v_sub_f16_e32 v8, v9, v7
	v_add_f16_e32 v9, v53, v9
	v_add_f16_e32 v23, v23, v58
	v_fmac_f16_e32 v53, -0.5, v26
	v_sub_f16_e32 v26, v36, v37
	v_pack_b32_f16 v2, v2, v24
	v_add_f16_e32 v7, v9, v7
	v_pack_b32_f16 v9, v43, v34
	v_pack_b32_f16 v1, v23, v1
	v_pack_b32_f16 v10, v45, v10
	v_add_f16_e32 v36, v39, v37
	v_fmamk_f16 v37, v8, 0xbaee, v0
	v_fmac_f16_e32 v0, 0x3aee, v8
	v_fmamk_f16 v8, v26, 0x3aee, v53
	v_fmac_f16_e32 v53, 0xbaee, v26
	ds_write_b32 v62, v9 offset:1152
	v_pack_b32_f16 v9, v35, v25
	v_pack_b32_f16 v13, v40, v13
	ds_write_b32 v62, v2 offset:2304
	ds_write2_b32 v62, v1, v10 offset1:54
	v_pack_b32_f16 v1, v3, v44
	v_pack_b32_f16 v3, v4, v47
	;; [unrolled: 1-line block ×9, first 2 shown]
	ds_write2_b32 v18, v9, v13 offset0:86 offset1:140
	ds_write2_b32 v19, v1, v3 offset0:118 offset1:172
	;; [unrolled: 1-line block ×3, first 2 shown]
	ds_write_b32 v62, v7 offset:864
	ds_write2_b32 v18, v6, v8 offset0:194 offset1:248
	ds_write2_b32 v20, v5, v0 offset0:98 offset1:152
	s_and_saveexec_b32 s0, vcc_lo
	s_cbranch_execz .LBB0_29
; %bb.28:
	v_mul_f16_sdwa v0, v33, v15 dst_sel:DWORD dst_unused:UNUSED_PAD src0_sel:WORD_1 src1_sel:DWORD
	v_mul_f16_sdwa v1, v32, v14 dst_sel:DWORD dst_unused:UNUSED_PAD src0_sel:WORD_1 src1_sel:DWORD
	;; [unrolled: 1-line block ×4, first 2 shown]
	v_fma_f16 v0, v33, v17, -v0
	v_fma_f16 v1, v32, v16, -v1
	v_fmac_f16_e32 v2, v32, v14
	v_fmac_f16_e32 v3, v33, v15
	v_add_f16_e32 v4, v1, v0
	v_add_f16_e32 v5, v1, v22
	;; [unrolled: 1-line block ×4, first 2 shown]
	v_sub_f16_e32 v2, v2, v3
	v_fmac_f16_e32 v22, -0.5, v4
	v_sub_f16_e32 v1, v1, v0
	v_fmac_f16_e32 v21, -0.5, v6
	v_add_f16_e32 v0, v0, v5
	v_add_f16_e32 v3, v7, v3
	v_fmamk_f16 v4, v2, 0xbaee, v22
	v_fmac_f16_e32 v22, 0x3aee, v2
	v_fmamk_f16 v2, v1, 0x3aee, v21
	v_fmac_f16_e32 v21, 0xbaee, v1
	v_pack_b32_f16 v0, v3, v0
	v_pack_b32_f16 v2, v2, v4
	;; [unrolled: 1-line block ×3, first 2 shown]
	ds_write_b32 v62, v0 offset:1080
	ds_write_b32 v62, v1 offset:2232
	;; [unrolled: 1-line block ×3, first 2 shown]
.LBB0_29:
	s_or_b32 exec_lo, exec_lo, s0
	s_waitcnt lgkmcnt(0)
	s_barrier
	buffer_gl0_inv
	ds_read2_b32 v[4:5], v62 offset1:54
	v_add_nc_u32_e32 v0, 0x200, v62
	v_add_nc_u32_e32 v6, 0x800, v62
	ds_read2_b32 v[0:1], v0 offset0:88 offset1:160
	ds_read2_b32 v[2:3], v6 offset0:64 offset1:118
	s_mov_b32 s4, 0xbda12f68
	s_mov_b32 s5, 0x3f52f684
	s_waitcnt lgkmcnt(2)
	v_lshrrev_b32_e32 v7, 16, v4
	v_mul_f16_sdwa v8, v78, v4 dst_sel:DWORD dst_unused:UNUSED_PAD src0_sel:WORD_1 src1_sel:DWORD
	v_mul_f16_sdwa v9, v78, v7 dst_sel:DWORD dst_unused:UNUSED_PAD src0_sel:WORD_1 src1_sel:DWORD
	v_fma_f16 v7, v78, v7, -v8
	s_waitcnt lgkmcnt(1)
	v_lshrrev_b32_e32 v13, 16, v1
	s_waitcnt lgkmcnt(0)
	v_lshrrev_b32_e32 v24, 16, v2
	v_fmac_f16_e32 v9, v78, v4
	v_cvt_f32_f16_e32 v7, v7
	v_mul_f16_sdwa v4, v79, v1 dst_sel:DWORD dst_unused:UNUSED_PAD src0_sel:WORD_1 src1_sel:DWORD
	v_mul_f16_sdwa v17, v79, v13 dst_sel:DWORD dst_unused:UNUSED_PAD src0_sel:WORD_1 src1_sel:DWORD
	;; [unrolled: 1-line block ×3, first 2 shown]
	v_cvt_f32_f16_e32 v11, v9
	v_cvt_f64_f32_e32 v[7:8], v7
	v_fma_f16 v4, v79, v13, -v4
	v_mad_u64_u32 v[9:10], null, s10, v31, 0
	v_cvt_f64_f32_e32 v[11:12], v11
	v_fmac_f16_e32 v17, v79, v1
	v_cvt_f32_f16_e32 v4, v4
	v_fmac_f16_e32 v18, v76, v2
	v_mad_u64_u32 v[13:14], null, s8, v77, 0
	v_mov_b32_e32 v1, v10
	v_cvt_f64_f32_e32 v[15:16], v4
	v_cvt_f32_f16_e32 v10, v17
	v_cvt_f32_f16_e32 v20, v18
	v_mad_u64_u32 v[17:18], null, s11, v31, v[1:2]
	v_cvt_f64_f32_e32 v[18:19], v10
	v_mov_b32_e32 v4, v14
	v_cvt_f64_f32_e32 v[20:21], v20
	v_mul_f64 v[22:23], v[7:8], s[4:5]
	v_mov_b32_e32 v10, v17
	v_mad_u64_u32 v[7:8], null, s9, v77, v[4:5]
	v_mul_f64 v[11:12], v[11:12], s[4:5]
	v_lshlrev_b64 v[8:9], 2, v[9:10]
	v_mul_f16_sdwa v10, v76, v2 dst_sel:DWORD dst_unused:UNUSED_PAD src0_sel:WORD_1 src1_sel:DWORD
	v_mov_b32_e32 v14, v7
	v_mul_f64 v[15:16], v[15:16], s[4:5]
	v_add_co_u32 v4, s0, s6, v8
	v_add_co_ci_u32_e64 v7, s0, s7, v9, s0
	v_fma_f16 v10, v76, v24, -v10
	v_mul_f64 v[1:2], v[18:19], s[4:5]
	v_mul_f64 v[8:9], v[20:21], s[4:5]
	v_cvt_f32_f16_e32 v10, v10
	v_and_or_b32 v17, 0x1ff, v23, v22
	v_lshrrev_b32_e32 v18, 8, v23
	v_bfe_u32 v19, v23, 20, 11
	v_lshrrev_b32_e32 v20, 16, v23
	v_and_or_b32 v11, 0x1ff, v12, v11
	v_cmp_ne_u32_e64 s0, 0, v17
	v_lshrrev_b32_e32 v21, 8, v12
	v_bfe_u32 v22, v12, 20, 11
	v_sub_nc_u32_e32 v23, 0x3f1, v19
	v_add_nc_u32_e32 v19, 0xfffffc10, v19
	v_cndmask_b32_e64 v17, 0, 1, s0
	v_cmp_ne_u32_e64 s0, 0, v11
	v_and_or_b32 v15, 0x1ff, v16, v15
	v_bfe_u32 v26, v16, 20, 11
	v_sub_nc_u32_e32 v31, 0x3f1, v22
	v_and_or_b32 v17, 0xffe, v18, v17
	v_cndmask_b32_e64 v11, 0, 1, s0
	v_cmp_ne_u32_e64 s0, 0, v15
	v_lshrrev_b32_e32 v25, 8, v16
	v_and_or_b32 v1, 0x1ff, v2, v1
	v_sub_nc_u32_e32 v33, 0x3f1, v26
	v_and_or_b32 v11, 0xffe, v21, v11
	v_cndmask_b32_e64 v15, 0, 1, s0
	v_med3_i32 v21, v31, 0, 13
	v_cmp_ne_u32_e64 s0, 0, v17
	v_med3_i32 v18, v23, 0, 13
	v_or_b32_e32 v35, 0x1000, v11
	v_or_b32_e32 v31, 0x1000, v17
	v_lshl_or_b32 v34, v19, 12, v17
	v_cndmask_b32_e64 v17, 0, 1, s0
	v_cmp_ne_u32_e64 s0, 0, v1
	v_and_or_b32 v15, 0xffe, v25, v15
	v_med3_i32 v25, v33, 0, 13
	v_lshrrev_b32_e32 v33, v21, v35
	v_add_nc_u32_e32 v22, 0xfffffc10, v22
	v_cndmask_b32_e64 v1, 0, 1, s0
	v_lshrrev_b32_e32 v38, v18, v31
	v_cmp_ne_u32_e64 s0, 0, v11
	v_lshlrev_b32_e32 v21, v21, v33
	v_lshrrev_b32_e32 v23, 8, v2
	v_bfe_u32 v32, v2, 20, 11
	v_lshl_or_b32 v37, v22, 12, v11
	v_cndmask_b32_e64 v11, 0, 1, s0
	v_lshlrev_b32_e32 v18, v18, v38
	v_cmp_ne_u32_e64 s0, v21, v35
	v_sub_nc_u32_e32 v36, 0x3f1, v32
	v_and_or_b32 v1, 0xffe, v23, v1
	v_add_nc_u32_e32 v32, 0xfffffc10, v32
	v_lshl_or_b32 v11, v11, 9, 0x7c00
	v_cndmask_b32_e64 v21, 0, 1, s0
	v_cmp_ne_u32_e64 s0, v18, v31
	v_med3_i32 v23, v36, 0, 13
	v_or_b32_e32 v35, 0x1000, v1
	v_or_b32_e32 v31, 0x1000, v15
	;; [unrolled: 1-line block ×3, first 2 shown]
	v_cndmask_b32_e64 v18, 0, 1, s0
	v_cmp_gt_i32_e64 s0, 1, v22
	v_lshrrev_b32_e32 v33, v23, v35
	v_lshrrev_b32_e32 v12, 16, v12
	v_lshl_or_b32 v17, v17, 9, 0x7c00
	v_or_b32_e32 v18, v38, v18
	v_cndmask_b32_e64 v21, v37, v21, s0
	v_cmp_gt_i32_e64 s0, 1, v19
	v_lshlrev_b32_e32 v23, v23, v33
	v_and_or_b32 v8, 0x1ff, v9, v8
	v_lshrrev_b32_e32 v2, 16, v2
	v_and_b32_e32 v36, 7, v21
	v_cndmask_b32_e64 v18, v34, v18, s0
	v_cmp_ne_u32_e64 s0, v23, v35
	v_lshrrev_b32_e32 v21, 2, v21
	v_lshl_or_b32 v34, v32, 12, v1
	v_cmp_eq_u32_e64 s1, 3, v36
	v_and_b32_e32 v35, 7, v18
	v_cndmask_b32_e64 v23, 0, 1, s0
	v_cmp_lt_i32_e64 s0, 5, v36
	v_lshrrev_b32_e32 v18, 2, v18
	v_cmp_lt_i32_e64 s2, 5, v35
	v_cmp_eq_u32_e64 s3, 3, v35
	s_or_b32 s0, s1, s0
	v_or_b32_e32 v23, v33, v23
	v_add_co_ci_u32_e64 v21, s0, 0, v21, s0
	s_or_b32 s0, s3, s2
	s_mul_i32 s3, s9, 0xfffffc58
	v_add_co_ci_u32_e64 v18, s0, 0, v18, s0
	v_cmp_gt_i32_e64 s0, 31, v22
	v_cndmask_b32_e64 v21, 0x7c00, v21, s0
	v_cmp_gt_i32_e64 s0, 1, v32
	v_cndmask_b32_e64 v23, v34, v23, s0
	;; [unrolled: 2-line block ×3, first 2 shown]
	v_cmp_eq_u32_e64 s0, 0x40f, v22
	v_and_b32_e32 v22, 7, v23
	v_cndmask_b32_e64 v11, v21, v11, s0
	v_cmp_eq_u32_e64 s0, 0x40f, v19
	v_lshrrev_b32_e32 v21, v25, v31
	v_cmp_eq_u32_e64 s1, 3, v22
	v_lshrrev_b32_e32 v19, 2, v23
	v_and_or_b32 v11, 0x8000, v12, v11
	v_cndmask_b32_e64 v17, v18, v17, s0
	v_lshlrev_b32_e32 v12, v25, v21
	v_cmp_lt_i32_e64 s0, 5, v22
	v_add_nc_u32_e32 v18, 0xfffffc10, v26
	v_and_b32_e32 v11, 0xffff, v11
	v_and_or_b32 v17, 0x8000, v20, v17
	v_cmp_ne_u32_e64 s2, v12, v31
	s_or_b32 s0, s1, s0
	v_lshl_or_b32 v20, v17, 16, v11
	v_add_co_ci_u32_e64 v11, s0, 0, v19, s0
	v_cndmask_b32_e64 v12, 0, 1, s2
	v_cmp_ne_u32_e64 s0, 0, v1
	v_lshl_or_b32 v17, v18, 12, v15
	v_cmp_ne_u32_e64 s2, 0, v8
	v_or_b32_e32 v12, v21, v12
	v_cndmask_b32_e64 v1, 0, 1, s0
	v_cmp_gt_i32_e64 s0, 1, v18
	v_cndmask_b32_e64 v8, 0, 1, s2
	s_mul_hi_u32 s2, s8, 0x120
	v_lshl_or_b32 v1, v1, 9, 0x7c00
	v_cndmask_b32_e64 v17, v17, v12, s0
	v_cmp_gt_i32_e64 s0, 31, v32
	v_lshlrev_b64 v[12:13], 2, v[13:14]
	v_and_b32_e32 v21, 7, v17
	v_cndmask_b32_e64 v19, 0x7c00, v11, s0
	v_cvt_f64_f32_e32 v[10:11], v10
	v_cmp_eq_u32_e64 s0, 0x40f, v32
	v_lshrrev_b32_e32 v14, 2, v17
	v_cmp_eq_u32_e64 s1, 3, v21
	v_lshrrev_b32_e32 v17, 8, v9
	v_cndmask_b32_e64 v1, v19, v1, s0
	v_cmp_lt_i32_e64 s0, 5, v21
	v_bfe_u32 v19, v9, 20, 11
	v_and_or_b32 v8, 0xffe, v17, v8
	v_lshrrev_b32_e32 v9, 16, v9
	s_or_b32 s0, s1, s0
	v_sub_nc_u32_e32 v17, 0x3f1, v19
	v_add_co_ci_u32_e64 v14, s0, 0, v14, s0
	v_cmp_ne_u32_e64 s0, 0, v15
	v_or_b32_e32 v21, 0x1000, v8
	v_med3_i32 v17, v17, 0, 13
	s_mul_i32 s1, s9, 0x120
	v_cndmask_b32_e64 v15, 0, 1, s0
	v_mul_f64 v[10:11], v[10:11], s[4:5]
	v_cmp_gt_i32_e64 s0, 31, v18
	s_add_i32 s1, s2, s1
	v_lshl_or_b32 v15, v15, 9, 0x7c00
	v_cndmask_b32_e64 v14, 0x7c00, v14, s0
	v_cmp_eq_u32_e64 s0, 0x40f, v18
	v_and_or_b32 v18, 0x8000, v2, v1
	v_cndmask_b32_e64 v14, v14, v15, s0
	v_lshrrev_b32_e32 v15, 16, v16
	v_lshrrev_b32_e32 v16, v17, v21
	v_add_co_u32 v12, s0, v4, v12
	v_add_co_ci_u32_e64 v13, s0, v7, v13, s0
	v_lshlrev_b32_e32 v1, v17, v16
	v_lshrrev_b32_e32 v17, 16, v5
	v_and_or_b32 v14, 0x8000, v15, v14
	v_and_or_b32 v10, 0x1ff, v11, v10
	v_cmp_ne_u32_e64 s0, v1, v21
	v_mul_f16_sdwa v2, v75, v17 dst_sel:DWORD dst_unused:UNUSED_PAD src0_sel:WORD_1 src1_sel:DWORD
	v_add_nc_u32_e32 v21, 0xfffffc10, v19
	v_bfe_u32 v19, v11, 20, 11
	v_cndmask_b32_e64 v1, 0, 1, s0
	v_cmp_ne_u32_e64 s0, 0, v10
	v_fmac_f16_e32 v2, v75, v5
	v_lshl_or_b32 v15, v21, 12, v8
	v_mul_f16_sdwa v5, v75, v5 dst_sel:DWORD dst_unused:UNUSED_PAD src0_sel:WORD_1 src1_sel:DWORD
	v_or_b32_e32 v1, v16, v1
	v_cndmask_b32_e64 v10, 0, 1, s0
	v_lshrrev_b32_e32 v16, 8, v11
	v_cmp_gt_i32_e64 s0, 1, v21
	v_cvt_f32_f16_e32 v2, v2
	v_fma_f16 v5, v75, v17, -v5
	v_and_or_b32 v10, 0xffe, v16, v10
	v_cndmask_b32_e64 v22, v15, v1, s0
	v_sub_nc_u32_e32 v15, 0x3f1, v19
	v_cvt_f64_f32_e32 v[1:2], v2
	v_and_b32_e32 v16, 0xffff, v18
	v_or_b32_e32 v23, 0x1000, v10
	v_and_b32_e32 v18, 7, v22
	v_med3_i32 v24, v15, 0, 13
	s_mul_i32 s0, s8, 0x120
	v_lshl_or_b32 v25, v14, 16, v16
	s_lshl_b64 s[6:7], s[0:1], 2
	v_cmp_lt_i32_e64 s0, 5, v18
	v_cmp_eq_u32_e64 s1, 3, v18
	v_lshrrev_b32_e32 v18, v24, v23
	v_lshrrev_b32_e32 v16, 2, v22
	v_add_co_u32 v14, s2, v12, s6
	s_or_b32 s0, s1, s0
	v_lshlrev_b32_e32 v22, v24, v18
	v_add_co_ci_u32_e64 v24, s0, 0, v16, s0
	v_add_co_ci_u32_e64 v15, s2, s7, v13, s2
	v_cmp_ne_u32_e64 s0, v22, v23
	v_add_nc_u32_e32 v22, 0xfffffc10, v19
	v_mul_f64 v[16:17], v[1:2], s[4:5]
	v_cvt_f32_f16_e32 v2, v5
	v_cndmask_b32_e64 v1, 0, 1, s0
	v_cmp_ne_u32_e64 s0, 0, v8
	v_lshl_or_b32 v8, v22, 12, v10
	v_or_b32_e32 v1, v18, v1
	v_cndmask_b32_e64 v5, 0, 1, s0
	v_cmp_gt_i32_e64 s0, 31, v21
	v_cvt_f64_f32_e32 v[18:19], v2
	v_lshl_or_b32 v23, v5, 9, 0x7c00
	v_cndmask_b32_e64 v2, 0x7c00, v24, s0
	v_cmp_gt_i32_e64 s0, 1, v22
	v_add_nc_u32_e32 v5, 0x400, v62
	v_cndmask_b32_e64 v8, v8, v1, s0
	v_cmp_eq_u32_e64 s0, 0x40f, v21
	v_cndmask_b32_e64 v21, v2, v23, s0
	ds_read2_b32 v[1:2], v5 offset0:86 offset1:140
	global_store_dword v[12:13], v20, off
	global_store_dword v[14:15], v25, off
	v_and_or_b32 v12, 0x1ff, v17, v16
	v_and_b32_e32 v23, 7, v8
	v_lshrrev_b32_e32 v13, 2, v8
	v_and_or_b32 v16, 0x8000, v9, v21
	v_lshrrev_b32_e32 v20, 8, v17
	v_cmp_ne_u32_e64 s2, 0, v12
	v_cmp_lt_i32_e64 s0, 5, v23
	v_cmp_eq_u32_e64 s1, 3, v23
	v_bfe_u32 v21, v17, 20, 11
	v_mul_f64 v[8:9], v[18:19], s[4:5]
	v_cndmask_b32_e64 v12, 0, 1, s2
	v_and_b32_e32 v16, 0xffff, v16
	s_or_b32 s0, s1, s0
	v_add_co_ci_u32_e64 v13, s0, 0, v13, s0
	v_and_or_b32 v20, 0xffe, v20, v12
	v_sub_nc_u32_e32 v12, 0x3f1, v21
	v_cmp_ne_u32_e64 s0, 0, v10
	s_waitcnt lgkmcnt(0)
	v_lshrrev_b32_e32 v23, 16, v1
	v_add_nc_u32_e32 v21, 0xfffffc10, v21
	v_or_b32_e32 v18, 0x1000, v20
	v_med3_i32 v19, v12, 0, 13
	v_cndmask_b32_e64 v10, 0, 1, s0
	v_cmp_gt_i32_e64 s0, 31, v22
	v_mul_f16_sdwa v25, v74, v23 dst_sel:DWORD dst_unused:UNUSED_PAD src0_sel:WORD_1 src1_sel:DWORD
	v_lshrrev_b32_e32 v26, v19, v18
	v_lshl_or_b32 v10, v10, 9, 0x7c00
	v_cndmask_b32_e64 v24, 0x7c00, v13, s0
	v_cmp_eq_u32_e64 s0, 0x40f, v22
	v_mad_u64_u32 v[12:13], null, s8, v73, 0
	v_fmac_f16_e32 v25, v74, v1
	v_lshrrev_b32_e32 v31, 8, v9
	v_cndmask_b32_e64 v22, v24, v10, s0
	v_lshlrev_b32_e32 v10, v19, v26
	v_and_or_b32 v19, 0x1ff, v9, v8
	v_lshrrev_b32_e32 v24, 16, v11
	v_mov_b32_e32 v8, v13
	v_cvt_f32_f16_e32 v11, v25
	v_cmp_ne_u32_e64 s0, v10, v18
	v_bfe_u32 v32, v9, 20, 11
	v_and_or_b32 v22, 0x8000, v24, v22
	v_mul_f16_sdwa v1, v74, v1 dst_sel:DWORD dst_unused:UNUSED_PAD src0_sel:WORD_1 src1_sel:DWORD
	v_cvt_f64_f32_e32 v[10:11], v11
	v_cndmask_b32_e64 v13, 0, 1, s0
	v_cmp_ne_u32_e64 s0, 0, v19
	v_mad_u64_u32 v[18:19], null, s9, v73, v[8:9]
	v_sub_nc_u32_e32 v19, 0x3f1, v32
	v_or_b32_e32 v13, v26, v13
	v_cndmask_b32_e64 v25, 0, 1, s0
	v_cmp_gt_i32_e64 s0, 1, v21
	v_fma_f16 v1, v74, v23, -v1
	v_med3_i32 v19, v19, 0, 13
	v_lshl_or_b32 v22, v22, 16, v16
	v_and_or_b32 v8, 0xffe, v31, v25
	v_lshl_or_b32 v25, v21, 12, v20
	v_cvt_f32_f16_e32 v1, v1
	v_add_nc_u32_e32 v23, 0xfffffc10, v32
	v_or_b32_e32 v24, 0x1000, v8
	v_cndmask_b32_e64 v25, v25, v13, s0
	v_mov_b32_e32 v13, v18
	v_lshrrev_b32_e32 v18, v19, v24
	v_and_b32_e32 v26, 7, v25
	v_mul_f64 v[10:11], v[10:11], s[4:5]
	v_lshlrev_b64 v[12:13], 2, v[12:13]
	v_lshlrev_b32_e32 v19, v19, v18
	v_cmp_lt_i32_e64 s0, 5, v26
	v_cmp_ne_u32_e64 s1, v19, v24
	v_lshrrev_b32_e32 v24, 2, v25
	v_lshl_or_b32 v25, v23, 12, v8
	v_cndmask_b32_e64 v16, 0, 1, s1
	v_cmp_eq_u32_e64 s1, 3, v26
	v_or_b32_e32 v16, v18, v16
	s_or_b32 s0, s1, s0
	v_cvt_f64_f32_e32 v[18:19], v1
	v_add_co_ci_u32_e64 v1, s0, 0, v24, s0
	v_cmp_ne_u32_e64 s0, 0, v20
	v_and_or_b32 v10, 0x1ff, v11, v10
	v_bfe_u32 v26, v11, 20, 11
	v_cndmask_b32_e64 v20, 0, 1, s0
	v_cmp_gt_i32_e64 s0, 1, v23
	v_cndmask_b32_e64 v24, v25, v16, s0
	v_cmp_gt_i32_e64 s0, 31, v21
	v_lshl_or_b32 v16, v20, 9, 0x7c00
	v_lshrrev_b32_e32 v25, 8, v11
	v_lshrrev_b32_e32 v11, 16, v11
	v_and_b32_e32 v20, 7, v24
	v_cndmask_b32_e64 v1, 0x7c00, v1, s0
	v_cmp_ne_u32_e64 s0, 0, v10
	v_cmp_eq_u32_e64 s1, 3, v20
	v_cndmask_b32_e64 v10, 0, 1, s0
	v_cmp_eq_u32_e64 s0, 0x40f, v21
	v_lshrrev_b32_e32 v21, 16, v17
	v_and_or_b32 v25, 0xffe, v25, v10
	v_cndmask_b32_e64 v1, v1, v16, s0
	v_cmp_lt_i32_e64 s0, 5, v20
	v_mul_f64 v[16:17], v[18:19], s[4:5]
	v_lshrrev_b32_e32 v18, 2, v24
	v_sub_nc_u32_e32 v10, 0x3f1, v26
	v_or_b32_e32 v19, 0x1000, v25
	s_or_b32 s0, s1, s0
	v_lshrrev_b32_e32 v20, 16, v3
	v_add_co_ci_u32_e64 v18, s0, 0, v18, s0
	v_med3_i32 v10, v10, 0, 13
	v_cmp_ne_u32_e64 s0, 0, v8
	v_mul_f16_sdwa v31, v72, v20 dst_sel:DWORD dst_unused:UNUSED_PAD src0_sel:WORD_1 src1_sel:DWORD
	v_and_or_b32 v1, 0x8000, v21, v1
	v_lshrrev_b32_e32 v21, 16, v9
	v_lshrrev_b32_e32 v24, v10, v19
	v_cndmask_b32_e64 v8, 0, 1, s0
	v_cmp_gt_i32_e64 s0, 31, v23
	v_fmac_f16_e32 v31, v72, v3
	v_and_b32_e32 v1, 0xffff, v1
	v_lshlrev_b32_e32 v10, v10, v24
	v_lshl_or_b32 v8, v8, 9, 0x7c00
	v_cndmask_b32_e64 v18, 0x7c00, v18, s0
	v_cmp_eq_u32_e64 s0, 0x40f, v23
	v_and_or_b32 v16, 0x1ff, v17, v16
	v_lshrrev_b32_e32 v23, 8, v17
	v_mul_f16_sdwa v3, v72, v3 dst_sel:DWORD dst_unused:UNUSED_PAD src0_sel:WORD_1 src1_sel:DWORD
	v_cndmask_b32_e64 v18, v18, v8, s0
	v_cmp_ne_u32_e64 s0, v10, v19
	v_cvt_f32_f16_e32 v8, v31
	v_add_nc_u32_e32 v19, 0xfffffc10, v26
	v_bfe_u32 v26, v17, 20, 11
	v_and_or_b32 v18, 0x8000, v21, v18
	v_cndmask_b32_e64 v10, 0, 1, s0
	v_cmp_ne_u32_e64 s0, 0, v16
	v_cvt_f64_f32_e32 v[8:9], v8
	v_lshl_or_b32 v21, v19, 12, v25
	v_lshl_or_b32 v1, v18, 16, v1
	v_or_b32_e32 v10, v24, v10
	v_cndmask_b32_e64 v16, 0, 1, s0
	v_cmp_gt_i32_e64 s0, 1, v19
	v_fma_f16 v3, v72, v20, -v3
	v_add_nc_u32_e32 v20, 0xfffffc10, v26
	v_lshrrev_b32_e32 v17, 16, v17
	v_and_or_b32 v16, 0xffe, v23, v16
	v_sub_nc_u32_e32 v23, 0x3f1, v26
	v_cndmask_b32_e64 v21, v21, v10, s0
	v_add_co_u32 v12, s0, v4, v12
	v_or_b32_e32 v24, 0x1000, v16
	v_med3_i32 v23, v23, 0, 13
	v_and_b32_e32 v4, 7, v21
	v_add_co_ci_u32_e64 v13, s0, v7, v13, s0
	v_cvt_f32_f16_e32 v3, v3
	v_lshrrev_b32_e32 v18, v23, v24
	v_cmp_lt_i32_e64 s0, 5, v4
	v_mul_f64 v[7:8], v[8:9], s[4:5]
	v_mad_u64_u32 v[9:10], null, 0xfffffc58, s8, v[14:15]
	v_lshlrev_b32_e32 v14, v23, v18
	v_cmp_eq_u32_e64 s1, 3, v4
	v_cmp_ne_u32_e64 s2, v14, v24
	v_cvt_f64_f32_e32 v[14:15], v3
	v_lshrrev_b32_e32 v3, 2, v21
	s_or_b32 s0, s1, s0
	v_cndmask_b32_e64 v4, 0, 1, s2
	s_sub_i32 s2, s3, s8
	v_add_co_ci_u32_e64 v3, s0, 0, v3, s0
	v_cmp_ne_u32_e64 s0, 0, v25
	v_or_b32_e32 v4, v18, v4
	v_lshl_or_b32 v18, v20, 12, v16
	v_add_nc_u32_e32 v10, s2, v10
	v_cndmask_b32_e64 v21, 0, 1, s0
	v_cmp_gt_i32_e64 s0, 1, v20
	v_lshrrev_b32_e32 v25, 8, v8
	v_bfe_u32 v26, v8, 20, 11
	v_lshl_or_b32 v21, v21, 9, 0x7c00
	v_cndmask_b32_e64 v18, v18, v4, s0
	v_and_or_b32 v4, 0x1ff, v8, v7
	v_cmp_gt_i32_e64 s0, 31, v19
	v_mul_f64 v[14:15], v[14:15], s[4:5]
	v_lshrrev_b32_e32 v8, 16, v8
	v_and_b32_e32 v23, 7, v18
	v_cndmask_b32_e64 v7, 0x7c00, v3, s0
	v_cmp_ne_u32_e64 s0, 0, v4
	ds_read2_b32 v[3:4], v62 offset0:108 offset1:162
	v_cmp_eq_u32_e64 s1, 3, v23
	global_store_dword v[12:13], v22, off
	global_store_dword v[9:10], v1, off
	v_cndmask_b32_e64 v24, 0, 1, s0
	v_cmp_eq_u32_e64 s0, 0x40f, v19
	v_sub_nc_u32_e32 v19, 0x3f1, v26
	v_cndmask_b32_e64 v7, v7, v21, s0
	v_cmp_lt_i32_e64 s0, 5, v23
	v_and_or_b32 v21, 0xffe, v25, v24
	v_med3_i32 v19, v19, 0, 13
	v_and_or_b32 v7, 0x8000, v11, v7
	v_lshrrev_b32_e32 v11, 2, v18
	s_or_b32 s0, s1, s0
	v_or_b32_e32 v18, 0x1000, v21
	v_and_or_b32 v14, 0x1ff, v15, v14
	s_waitcnt lgkmcnt(0)
	v_lshrrev_b32_e32 v24, 16, v3
	v_add_co_ci_u32_e64 v11, s0, 0, v11, s0
	v_cmp_ne_u32_e64 s0, 0, v16
	v_lshrrev_b32_e32 v23, v19, v18
	v_mul_f16_sdwa v25, v71, v24 dst_sel:DWORD dst_unused:UNUSED_PAD src0_sel:WORD_1 src1_sel:DWORD
	v_and_b32_e32 v7, 0xffff, v7
	v_cndmask_b32_e64 v16, 0, 1, s0
	v_cmp_gt_i32_e64 s0, 31, v20
	v_lshlrev_b32_e32 v19, v19, v23
	v_fmac_f16_e32 v25, v71, v3
	v_mul_f16_sdwa v3, v71, v3 dst_sel:DWORD dst_unused:UNUSED_PAD src0_sel:WORD_1 src1_sel:DWORD
	v_lshl_or_b32 v16, v16, 9, 0x7c00
	v_cndmask_b32_e64 v11, 0x7c00, v11, s0
	v_cmp_eq_u32_e64 s0, 0x40f, v20
	v_bfe_u32 v20, v15, 20, 11
	v_fma_f16 v3, v71, v24, -v3
	v_cndmask_b32_e64 v11, v11, v16, s0
	v_cmp_ne_u32_e64 s0, v19, v18
	v_lshrrev_b32_e32 v18, 8, v15
	v_cvt_f32_f16_e32 v19, v25
	v_add_nc_u32_e32 v25, 0xfffffc10, v26
	v_and_or_b32 v11, 0x8000, v17, v11
	v_cndmask_b32_e64 v16, 0, 1, s0
	v_cmp_ne_u32_e64 s0, 0, v14
	v_cvt_f32_f16_e32 v3, v3
	v_lshl_or_b32 v26, v25, 12, v21
	v_lshl_or_b32 v1, v11, 16, v7
	v_or_b32_e32 v16, v23, v16
	v_cndmask_b32_e64 v14, 0, 1, s0
	v_cmp_gt_i32_e64 s0, 1, v25
	v_lshrrev_b32_e32 v15, 16, v15
	v_and_or_b32 v23, 0xffe, v18, v14
	v_sub_nc_u32_e32 v14, 0x3f1, v20
	v_cvt_f64_f32_e32 v[18:19], v19
	v_cndmask_b32_e64 v16, v26, v16, s0
	v_or_b32_e32 v31, 0x1000, v23
	v_med3_i32 v14, v14, 0, 13
	v_and_b32_e32 v26, 7, v16
	v_lshrrev_b32_e32 v13, 2, v16
	v_add_nc_u32_e32 v16, 0xfffffc10, v20
	v_lshrrev_b32_e32 v17, v14, v31
	v_cmp_lt_i32_e64 s0, 5, v26
	v_cmp_eq_u32_e64 s1, 3, v26
	v_lshlrev_b32_e32 v7, v14, v17
	s_or_b32 s0, s1, s0
	v_cmp_ne_u32_e64 s2, v7, v31
	v_mul_f64 v[11:12], v[18:19], s[4:5]
	v_add_co_ci_u32_e64 v18, s0, 0, v13, s0
	v_cndmask_b32_e64 v7, 0, 1, s2
	v_cmp_ne_u32_e64 s0, 0, v21
	v_lshl_or_b32 v13, v16, 12, v23
	v_lshrrev_b32_e32 v21, 16, v2
	v_or_b32_e32 v7, v17, v7
	v_cndmask_b32_e64 v17, 0, 1, s0
	v_cmp_gt_i32_e64 s0, 1, v16
	v_mul_f16_sdwa v22, v70, v21 dst_sel:DWORD dst_unused:UNUSED_PAD src0_sel:WORD_1 src1_sel:DWORD
	v_lshl_or_b32 v17, v17, 9, 0x7c00
	v_cndmask_b32_e64 v7, v13, v7, s0
	v_cvt_f64_f32_e32 v[13:14], v3
	v_cmp_gt_i32_e64 s0, 31, v25
	v_fmac_f16_e32 v22, v70, v2
	v_mul_f16_sdwa v2, v70, v2 dst_sel:DWORD dst_unused:UNUSED_PAD src0_sel:WORD_1 src1_sel:DWORD
	v_and_or_b32 v11, 0x1ff, v12, v11
	v_cndmask_b32_e64 v3, 0x7c00, v18, s0
	v_add_co_u32 v9, s0, v9, s6
	v_add_co_ci_u32_e64 v10, s0, s7, v10, s0
	v_and_b32_e32 v18, 7, v7
	v_cmp_eq_u32_e64 s0, 0x40f, v25
	v_cmp_ne_u32_e64 s2, 0, v11
	v_lshrrev_b32_e32 v7, 2, v7
	global_store_dword v[9:10], v1, off
	v_cmp_eq_u32_e64 s1, 3, v18
	v_cndmask_b32_e64 v3, v3, v17, s0
	v_cmp_lt_i32_e64 s0, 5, v18
	v_cndmask_b32_e64 v11, 0, 1, s2
	v_lshrrev_b32_e32 v17, 8, v12
	v_bfe_u32 v18, v12, 20, 11
	v_mul_f64 v[13:14], v[13:14], s[4:5]
	s_or_b32 s0, s1, s0
	v_and_or_b32 v3, 0x8000, v8, v3
	v_and_or_b32 v11, 0xffe, v17, v11
	v_sub_nc_u32_e32 v17, 0x3f1, v18
	v_add_co_ci_u32_e64 v7, s0, 0, v7, s0
	v_cmp_ne_u32_e64 s0, 0, v23
	v_or_b32_e32 v20, 0x1000, v11
	v_med3_i32 v17, v17, 0, 13
	v_cvt_f32_f16_e32 v8, v22
	v_and_b32_e32 v3, 0xffff, v3
	v_cndmask_b32_e64 v19, 0, 1, s0
	v_cmp_gt_i32_e64 s0, 31, v16
	v_lshrrev_b32_e32 v23, v17, v20
	v_fma_f16 v2, v70, v21, -v2
	v_lshrrev_b32_e32 v12, 16, v12
	v_lshl_or_b32 v19, v19, 9, 0x7c00
	v_cndmask_b32_e64 v7, 0x7c00, v7, s0
	v_cmp_eq_u32_e64 s0, 0x40f, v16
	v_lshlrev_b32_e32 v1, v17, v23
	v_add_nc_u32_e32 v17, 0xfffffc10, v18
	v_and_or_b32 v13, 0x1ff, v14, v13
	v_lshrrev_b32_e32 v16, 8, v14
	v_cndmask_b32_e64 v7, v7, v19, s0
	v_cmp_ne_u32_e64 s0, v1, v20
	v_bfe_u32 v18, v14, 20, 11
	v_lshl_or_b32 v19, v17, 12, v11
	v_cvt_f32_f16_e32 v2, v2
	v_and_or_b32 v15, 0x8000, v15, v7
	v_cndmask_b32_e64 v1, 0, 1, s0
	v_cmp_ne_u32_e64 s0, 0, v13
	v_cvt_f64_f32_e32 v[7:8], v8
	v_lshrrev_b32_e32 v14, 16, v14
	v_lshl_or_b32 v3, v15, 16, v3
	v_or_b32_e32 v1, v23, v1
	v_cndmask_b32_e64 v13, 0, 1, s0
	v_cmp_gt_i32_e64 s0, 1, v17
	v_and_or_b32 v13, 0xffe, v16, v13
	v_sub_nc_u32_e32 v16, 0x3f1, v18
	v_cndmask_b32_e64 v1, v19, v1, s0
	v_add_co_u32 v9, s0, v9, s6
	v_or_b32_e32 v15, 0x1000, v13
	v_med3_i32 v16, v16, 0, 13
	v_add_co_ci_u32_e64 v10, s0, s7, v10, s0
	v_and_b32_e32 v20, 7, v1
	v_lshrrev_b32_e32 v1, 2, v1
	v_lshrrev_b32_e32 v19, v16, v15
	global_store_dword v[9:10], v3, off
	v_mul_f64 v[7:8], v[7:8], s[4:5]
	v_cmp_lt_i32_e64 s0, 5, v20
	v_cmp_eq_u32_e64 s1, 3, v20
	v_lshlrev_b32_e32 v3, v16, v19
	v_add_nc_u32_e32 v18, 0xfffffc10, v18
	s_or_b32 s0, s1, s0
	v_cmp_ne_u32_e64 s2, v3, v15
	v_add_co_ci_u32_e64 v1, s0, 0, v1, s0
	v_cmp_ne_u32_e64 s0, 0, v11
	v_cvt_f64_f32_e32 v[15:16], v2
	v_cndmask_b32_e64 v3, 0, 1, s2
	s_mul_i32 s2, s9, 0xfffffdf6
	v_cndmask_b32_e64 v2, 0, 1, s0
	v_cmp_gt_i32_e64 s0, 1, v18
	v_or_b32_e32 v3, v19, v3
	v_lshl_or_b32 v19, v18, 12, v13
	v_lshrrev_b32_e32 v21, 8, v8
	v_bfe_u32 v22, v8, 20, 11
	v_cndmask_b32_e64 v11, v19, v3, s0
	v_and_or_b32 v3, 0x1ff, v8, v7
	v_cmp_gt_i32_e64 s0, 31, v17
	v_lshl_or_b32 v7, v2, 9, 0x7c00
	v_lshrrev_b32_e32 v8, 16, v8
	v_and_b32_e32 v19, 7, v11
	v_lshrrev_b32_e32 v11, 2, v11
	v_cndmask_b32_e64 v1, 0x7c00, v1, s0
	v_cmp_ne_u32_e64 s0, 0, v3
	ds_read2_b32 v[2:3], v6 offset0:172 offset1:226
	v_cmp_eq_u32_e64 s1, 3, v19
	v_cndmask_b32_e64 v20, 0, 1, s0
	v_cmp_eq_u32_e64 s0, 0x40f, v17
	v_and_or_b32 v17, 0xffe, v21, v20
	v_cndmask_b32_e64 v1, v1, v7, s0
	v_cmp_lt_i32_e64 s0, 5, v19
	v_mul_f64 v[6:7], v[15:16], s[4:5]
	v_sub_nc_u32_e32 v20, 0x3f1, v22
	v_or_b32_e32 v15, 0x1000, v17
	v_and_or_b32 v21, 0x8000, v12, v1
	s_or_b32 s0, s1, s0
	v_add_co_ci_u32_e64 v11, s0, 0, v11, s0
	v_med3_i32 v16, v20, 0, 13
	v_cmp_ne_u32_e64 s0, 0, v13
	s_waitcnt lgkmcnt(0)
	v_lshrrev_b32_e32 v20, 16, v2
	v_lshrrev_b32_e32 v19, v16, v15
	v_cndmask_b32_e64 v13, 0, 1, s0
	v_cmp_gt_i32_e64 s0, 31, v18
	v_lshlrev_b32_e32 v16, v16, v19
	v_lshl_or_b32 v13, v13, 9, 0x7c00
	v_cndmask_b32_e64 v11, 0x7c00, v11, s0
	v_cmp_eq_u32_e64 s0, 0x40f, v18
	v_and_or_b32 v6, 0x1ff, v7, v6
	v_bfe_u32 v18, v7, 20, 11
	v_cndmask_b32_e64 v1, v11, v13, s0
	v_cmp_ne_u32_e64 s0, v16, v15
	v_mul_f16_sdwa v11, v69, v20 dst_sel:DWORD dst_unused:UNUSED_PAD src0_sel:WORD_1 src1_sel:DWORD
	v_add_nc_u32_e32 v13, 0xfffffc10, v22
	v_lshrrev_b32_e32 v16, 8, v7
	v_and_or_b32 v14, 0x8000, v14, v1
	v_cndmask_b32_e64 v12, 0, 1, s0
	v_cmp_ne_u32_e64 s0, 0, v6
	v_fmac_f16_e32 v11, v69, v2
	v_lshl_or_b32 v15, v13, 12, v17
	v_mul_f16_sdwa v2, v69, v2 dst_sel:DWORD dst_unused:UNUSED_PAD src0_sel:WORD_1 src1_sel:DWORD
	v_or_b32_e32 v12, v19, v12
	v_cndmask_b32_e64 v6, 0, 1, s0
	v_cmp_gt_i32_e64 s0, 1, v13
	v_cvt_f32_f16_e32 v11, v11
	v_fma_f16 v2, v69, v20, -v2
	v_and_b32_e32 v20, 0xffff, v21
	v_and_or_b32 v6, 0xffe, v16, v6
	v_sub_nc_u32_e32 v16, 0x3f1, v18
	v_cndmask_b32_e64 v15, v15, v12, s0
	v_cvt_f64_f32_e32 v[11:12], v11
	s_mul_hi_u32 s0, s8, 0xfffffdf6
	v_or_b32_e32 v19, 0x1000, v6
	v_med3_i32 v16, v16, 0, 13
	v_and_b32_e32 v1, 7, v15
	s_sub_i32 s3, s0, s8
	v_add_nc_u32_e32 v18, 0xfffffc10, v18
	s_add_i32 s3, s3, s2
	v_lshrrev_b32_e32 v22, v16, v19
	v_cmp_lt_i32_e64 s0, 5, v1
	v_cmp_eq_u32_e64 s1, 3, v1
	v_lshrrev_b32_e32 v1, 2, v15
	s_mul_i32 s2, s8, 0xfffffdf6
	v_lshlrev_b32_e32 v15, v16, v22
	s_lshl_b64 s[8:9], s[2:3], 2
	s_or_b32 s0, s1, s0
	v_lshrrev_b32_e32 v7, 16, v7
	v_add_co_ci_u32_e64 v16, s0, 0, v1, s0
	v_cmp_ne_u32_e64 s0, v15, v19
	v_cvt_f32_f16_e32 v1, v2
	v_lshl_or_b32 v19, v18, 12, v6
	v_mul_f64 v[11:12], v[11:12], s[4:5]
	v_cndmask_b32_e64 v15, 0, 1, s0
	v_cmp_ne_u32_e64 s0, 0, v17
	v_cvt_f64_f32_e32 v[1:2], v1
	v_or_b32_e32 v15, v22, v15
	v_cndmask_b32_e64 v17, 0, 1, s0
	v_cmp_gt_i32_e64 s0, 31, v13
	v_lshl_or_b32 v17, v17, 9, 0x7c00
	v_cndmask_b32_e64 v16, 0x7c00, v16, s0
	v_cmp_gt_i32_e64 s0, 1, v18
	v_cndmask_b32_e64 v15, v19, v15, s0
	v_cmp_eq_u32_e64 s0, 0x40f, v13
	v_and_or_b32 v11, 0x1ff, v12, v11
	v_cndmask_b32_e64 v13, v16, v17, s0
	v_and_b32_e32 v16, 7, v15
	v_lshl_or_b32 v17, v14, 16, v20
	v_cmp_ne_u32_e64 s2, 0, v11
	v_lshrrev_b32_e32 v11, 8, v12
	v_and_or_b32 v8, 0x8000, v8, v13
	v_mul_f64 v[13:14], v[1:2], s[4:5]
	v_cmp_lt_i32_e64 s0, 5, v16
	v_cmp_eq_u32_e64 s1, 3, v16
	v_lshrrev_b32_e32 v1, 2, v15
	v_cndmask_b32_e64 v2, 0, 1, s2
	v_bfe_u32 v15, v12, 20, 11
	v_lshrrev_b32_e32 v16, 16, v4
	s_or_b32 s0, s1, s0
	v_and_b32_e32 v8, 0xffff, v8
	v_add_co_ci_u32_e64 v1, s0, 0, v1, s0
	v_and_or_b32 v19, 0xffe, v11, v2
	v_sub_nc_u32_e32 v2, 0x3f1, v15
	v_cmp_ne_u32_e64 s0, 0, v6
	v_mul_f16_sdwa v20, v68, v16 dst_sel:DWORD dst_unused:UNUSED_PAD src0_sel:WORD_1 src1_sel:DWORD
	v_lshrrev_b32_e32 v12, 16, v12
	v_or_b32_e32 v11, 0x1000, v19
	v_med3_i32 v2, v2, 0, 13
	v_cndmask_b32_e64 v6, 0, 1, s0
	v_cmp_gt_i32_e64 s0, 31, v18
	v_fmac_f16_e32 v20, v68, v4
	v_lshrrev_b32_e32 v21, v2, v11
	v_lshl_or_b32 v6, v6, 9, 0x7c00
	v_cndmask_b32_e64 v1, 0x7c00, v1, s0
	v_and_or_b32 v13, 0x1ff, v14, v13
	v_cmp_eq_u32_e64 s0, 0x40f, v18
	v_lshlrev_b32_e32 v18, v2, v21
	v_bfe_u32 v22, v14, 20, 11
	v_cndmask_b32_e64 v6, v1, v6, s0
	v_cmp_ne_u32_e64 s0, 0, v13
	v_cvt_f32_f16_e32 v1, v20
	v_lshrrev_b32_e32 v20, 8, v14
	v_lshrrev_b32_e32 v14, 16, v14
	v_and_or_b32 v23, 0x8000, v7, v6
	v_cndmask_b32_e64 v13, 0, 1, s0
	v_cmp_ne_u32_e64 s0, v18, v11
	v_cvt_f64_f32_e32 v[1:2], v1
	v_add_nc_u32_e32 v18, 0xfffffc10, v15
	v_sub_nc_u32_e32 v15, 0x3f1, v22
	v_and_or_b32 v13, 0xffe, v20, v13
	v_cndmask_b32_e64 v11, 0, 1, s0
	v_lshl_or_b32 v23, v23, 16, v8
	v_lshl_or_b32 v20, v18, 12, v19
	v_med3_i32 v15, v15, 0, 13
	v_cmp_gt_i32_e64 s0, 1, v18
	v_or_b32_e32 v11, v21, v11
	v_or_b32_e32 v21, 0x1000, v13
	v_cndmask_b32_e64 v20, v20, v11, s0
	v_lshrrev_b32_e32 v24, v15, v21
	v_add_co_u32 v6, s0, v9, s8
	v_add_co_ci_u32_e64 v7, s0, s9, v10, s0
	v_lshlrev_b32_e32 v15, v15, v24
	v_and_b32_e32 v25, 7, v20
	v_mul_f64 v[8:9], v[1:2], s[4:5]
	v_mul_f16_sdwa v1, v68, v4 dst_sel:DWORD dst_unused:UNUSED_PAD src0_sel:WORD_1 src1_sel:DWORD
	v_add_co_u32 v10, s0, v6, s6
	v_cmp_ne_u32_e64 s1, v15, v21
	v_add_co_ci_u32_e64 v11, s0, s7, v7, s0
	v_cmp_lt_i32_e64 s0, 5, v25
	v_fma_f16 v1, v68, v16, -v1
	v_cndmask_b32_e64 v2, 0, 1, s1
	v_cmp_eq_u32_e64 s1, 3, v25
	v_lshrrev_b32_e32 v4, 2, v20
	v_add_nc_u32_e32 v21, 0xfffffc10, v22
	v_cvt_f32_f16_e32 v1, v1
	v_or_b32_e32 v2, v24, v2
	s_or_b32 s0, s1, s0
	v_add_co_ci_u32_e64 v4, s0, 0, v4, s0
	v_cmp_ne_u32_e64 s0, 0, v19
	v_cvt_f64_f32_e32 v[15:16], v1
	v_lshl_or_b32 v20, v21, 12, v13
	v_and_or_b32 v8, 0x1ff, v9, v8
	v_lshrrev_b32_e32 v22, 8, v9
	v_cndmask_b32_e64 v19, 0, 1, s0
	v_cmp_gt_i32_e64 s0, 1, v21
	v_bfe_u32 v24, v9, 20, 11
	v_cndmask_b32_e64 v20, v20, v2, s0
	v_cmp_gt_i32_e64 s0, 31, v18
	ds_read2_b32 v[1:2], v5 offset0:194 offset1:248
	v_lshl_or_b32 v5, v19, 9, 0x7c00
	global_store_dword v[6:7], v17, off
	global_store_dword v[10:11], v23, off
	v_and_b32_e32 v19, 7, v20
	v_cndmask_b32_e64 v4, 0x7c00, v4, s0
	v_cmp_ne_u32_e64 s0, 0, v8
	v_cmp_eq_u32_e64 s1, 3, v19
	v_cndmask_b32_e64 v8, 0, 1, s0
	v_cmp_eq_u32_e64 s0, 0x40f, v18
	v_and_or_b32 v8, 0xffe, v22, v8
	v_cndmask_b32_e64 v18, v4, v5, s0
	v_cmp_lt_i32_e64 s0, 5, v19
	v_mul_f64 v[4:5], v[15:16], s[4:5]
	v_lshrrev_b32_e32 v15, 2, v20
	v_sub_nc_u32_e32 v22, 0x3f1, v24
	v_or_b32_e32 v16, 0x1000, v8
	s_or_b32 s0, s1, s0
	s_waitcnt lgkmcnt(0)
	v_lshrrev_b32_e32 v20, 16, v1
	v_add_co_ci_u32_e64 v15, s0, 0, v15, s0
	v_med3_i32 v19, v22, 0, 13
	v_cmp_ne_u32_e64 s0, 0, v13
	v_mul_f16_sdwa v22, v67, v20 dst_sel:DWORD dst_unused:UNUSED_PAD src0_sel:WORD_1 src1_sel:DWORD
	v_and_or_b32 v18, 0x8000, v12, v18
	v_lshrrev_b32_e32 v25, v19, v16
	v_cndmask_b32_e64 v13, 0, 1, s0
	v_cmp_gt_i32_e64 s0, 31, v21
	v_fmac_f16_e32 v22, v67, v1
	v_mul_f16_sdwa v1, v67, v1 dst_sel:DWORD dst_unused:UNUSED_PAD src0_sel:WORD_1 src1_sel:DWORD
	v_lshlrev_b32_e32 v12, v19, v25
	v_lshl_or_b32 v13, v13, 9, 0x7c00
	v_cndmask_b32_e64 v15, 0x7c00, v15, s0
	v_cmp_eq_u32_e64 s0, 0x40f, v21
	v_and_or_b32 v4, 0x1ff, v5, v4
	v_add_nc_u32_e32 v19, 0xfffffc10, v24
	v_lshrrev_b32_e32 v21, 8, v5
	v_fma_f16 v1, v67, v20, -v1
	v_cndmask_b32_e64 v15, v15, v13, s0
	v_cmp_ne_u32_e64 s0, v12, v16
	v_cvt_f32_f16_e32 v13, v22
	v_bfe_u32 v22, v5, 20, 11
	v_lshl_or_b32 v24, v19, 12, v8
	v_and_or_b32 v14, 0x8000, v14, v15
	v_cndmask_b32_e64 v16, 0, 1, s0
	v_cmp_ne_u32_e64 s0, 0, v4
	v_cvt_f64_f32_e32 v[12:13], v13
	v_and_b32_e32 v15, 0xffff, v18
	v_cvt_f32_f16_e32 v1, v1
	v_or_b32_e32 v16, v25, v16
	v_cndmask_b32_e64 v4, 0, 1, s0
	v_cmp_gt_i32_e64 s0, 1, v19
	v_lshl_or_b32 v14, v14, 16, v15
	v_lshrrev_b32_e32 v20, 16, v3
	v_lshrrev_b32_e32 v5, 16, v5
	v_and_or_b32 v4, 0xffe, v21, v4
	v_sub_nc_u32_e32 v21, 0x3f1, v22
	v_cndmask_b32_e64 v16, v24, v16, s0
	v_or_b32_e32 v18, 0x1000, v4
	v_med3_i32 v21, v21, 0, 13
	v_and_b32_e32 v24, 7, v16
	v_lshrrev_b32_e32 v15, v21, v18
	v_cmp_lt_i32_e64 s0, 5, v24
	v_cmp_eq_u32_e64 s1, 3, v24
	v_mul_f64 v[6:7], v[12:13], s[4:5]
	v_lshrrev_b32_e32 v12, 2, v16
	v_lshlrev_b32_e32 v13, v21, v15
	v_add_nc_u32_e32 v16, 0xfffffc10, v22
	s_or_b32 s0, s1, s0
	v_mul_f16_sdwa v21, v66, v20 dst_sel:DWORD dst_unused:UNUSED_PAD src0_sel:WORD_1 src1_sel:DWORD
	v_add_co_ci_u32_e64 v12, s0, 0, v12, s0
	v_cmp_ne_u32_e64 s0, v13, v18
	v_lshrrev_b32_e32 v18, 16, v9
	v_fmac_f16_e32 v21, v66, v3
	v_mul_f16_sdwa v3, v66, v3 dst_sel:DWORD dst_unused:UNUSED_PAD src0_sel:WORD_1 src1_sel:DWORD
	v_cndmask_b32_e64 v13, 0, 1, s0
	v_cmp_ne_u32_e64 s0, 0, v8
	v_fma_f16 v3, v66, v20, -v3
	v_or_b32_e32 v13, v15, v13
	v_cndmask_b32_e64 v8, 0, 1, s0
	v_cmp_gt_i32_e64 s0, 31, v19
	v_lshl_or_b32 v15, v16, 12, v4
	v_cvt_f32_f16_e32 v3, v3
	v_lshl_or_b32 v8, v8, 9, 0x7c00
	v_cndmask_b32_e64 v17, 0x7c00, v12, s0
	v_cmp_gt_i32_e64 s0, 1, v16
	v_cndmask_b32_e64 v15, v15, v13, s0
	v_cvt_f64_f32_e32 v[12:13], v1
	v_add_co_u32 v10, s0, v10, s6
	v_add_co_ci_u32_e64 v11, s0, s7, v11, s0
	v_and_or_b32 v1, 0x1ff, v7, v6
	v_cmp_eq_u32_e64 s0, 0x40f, v19
	v_bfe_u32 v19, v7, 20, 11
	global_store_dword v[10:11], v14, off
	v_cndmask_b32_e64 v6, v17, v8, s0
	v_cmp_ne_u32_e64 s0, 0, v1
	v_and_b32_e32 v8, 7, v15
	v_lshrrev_b32_e32 v17, 8, v7
	v_lshrrev_b32_e32 v15, 2, v15
	v_and_or_b32 v6, 0x8000, v18, v6
	v_cndmask_b32_e64 v1, 0, 1, s0
	v_cmp_lt_i32_e64 s0, 5, v8
	v_cmp_eq_u32_e64 s1, 3, v8
	v_mul_f64 v[8:9], v[12:13], s[4:5]
	v_and_or_b32 v1, 0xffe, v17, v1
	v_sub_nc_u32_e32 v17, 0x3f1, v19
	s_or_b32 s0, s1, s0
	v_add_co_ci_u32_e64 v13, s0, 0, v15, s0
	v_or_b32_e32 v22, 0x1000, v1
	v_med3_i32 v12, v17, 0, 13
	v_cmp_ne_u32_e64 s0, 0, v4
	v_cvt_f32_f16_e32 v17, v21
	v_lshrrev_b32_e32 v15, v12, v22
	v_cndmask_b32_e64 v4, 0, 1, s0
	v_cmp_gt_i32_e64 s0, 31, v16
	v_lshlrev_b32_e32 v18, v12, v15
	v_lshl_or_b32 v4, v4, 9, 0x7c00
	v_cndmask_b32_e64 v21, 0x7c00, v13, s0
	v_cmp_eq_u32_e64 s0, 0x40f, v16
	v_cvt_f64_f32_e32 v[12:13], v17
	v_and_or_b32 v8, 0x1ff, v9, v8
	v_add_nc_u32_e32 v17, 0xfffffc10, v19
	v_cndmask_b32_e64 v4, v21, v4, s0
	v_cmp_ne_u32_e64 s0, v18, v22
	v_bfe_u32 v18, v9, 20, 11
	v_and_or_b32 v4, 0x8000, v5, v4
	v_cndmask_b32_e64 v16, 0, 1, s0
	v_cmp_ne_u32_e64 s0, 0, v8
	v_and_b32_e32 v5, 0xffff, v6
	v_sub_nc_u32_e32 v14, 0x3f1, v18
	v_or_b32_e32 v6, v15, v16
	v_cndmask_b32_e64 v8, 0, 1, s0
	v_lshrrev_b32_e32 v16, 8, v9
	v_lshl_or_b32 v15, v17, 12, v1
	v_cmp_gt_i32_e64 s0, 1, v17
	v_lshrrev_b32_e32 v9, 16, v9
	v_and_or_b32 v8, 0xffe, v16, v8
	v_cndmask_b32_e64 v6, v15, v6, s0
	v_lshl_or_b32 v15, v4, 16, v5
	v_mul_f64 v[4:5], v[12:13], s[4:5]
	v_or_b32_e32 v12, 0x1000, v8
	v_med3_i32 v13, v14, 0, 13
	v_and_b32_e32 v16, 7, v6
	v_add_co_u32 v10, s0, v10, s8
	v_add_co_ci_u32_e64 v11, s0, s9, v11, s0
	v_lshrrev_b32_e32 v14, v13, v12
	v_cmp_lt_i32_e64 s0, 5, v16
	v_cmp_eq_u32_e64 s1, 3, v16
	v_lshrrev_b32_e32 v6, 2, v6
	global_store_dword v[10:11], v15, off
	v_lshlrev_b32_e32 v13, v13, v14
	s_or_b32 s0, s1, s0
	v_add_co_ci_u32_e64 v6, s0, 0, v6, s0
	v_cmp_ne_u32_e64 s0, v13, v12
	v_add_nc_u32_e32 v13, 0xfffffc10, v18
	v_and_or_b32 v15, 0x1ff, v5, v4
	v_cvt_f64_f32_e32 v[3:4], v3
	v_cndmask_b32_e64 v12, 0, 1, s0
	v_cmp_gt_i32_e64 s0, 31, v17
	v_lshrrev_b32_e32 v16, 8, v5
	v_bfe_u32 v18, v5, 20, 11
	v_or_b32_e32 v12, v14, v12
	v_cndmask_b32_e64 v6, 0x7c00, v6, s0
	v_cmp_ne_u32_e64 s0, 0, v15
	v_lshl_or_b32 v14, v13, 12, v8
	v_cndmask_b32_e64 v15, 0, 1, s0
	v_cmp_ne_u32_e64 s0, 0, v1
	v_cndmask_b32_e64 v1, 0, 1, s0
	v_cmp_gt_i32_e64 s0, 1, v13
	v_mul_f64 v[3:4], v[3:4], s[4:5]
	v_lshl_or_b32 v1, v1, 9, 0x7c00
	v_cndmask_b32_e64 v12, v14, v12, s0
	v_and_or_b32 v14, 0xffe, v16, v15
	v_sub_nc_u32_e32 v15, 0x3f1, v18
	v_cmp_eq_u32_e64 s0, 0x40f, v17
	v_lshrrev_b32_e32 v16, 16, v0
	v_and_b32_e32 v19, 7, v12
	v_or_b32_e32 v20, 0x1000, v14
	v_med3_i32 v15, v15, 0, 13
	v_cndmask_b32_e64 v1, v6, v1, s0
	v_lshrrev_b32_e32 v6, 2, v12
	v_cmp_lt_i32_e64 s0, 5, v19
	v_cmp_eq_u32_e64 s1, 3, v19
	v_lshrrev_b32_e32 v17, v15, v20
	v_mul_f16_sdwa v21, v65, v16 dst_sel:DWORD dst_unused:UNUSED_PAD src0_sel:WORD_1 src1_sel:DWORD
	v_lshrrev_b32_e32 v19, 16, v7
	v_add_nc_u32_e32 v18, 0xfffffc10, v18
	s_or_b32 s0, s1, s0
	v_lshlrev_b32_e32 v12, v15, v17
	v_add_co_ci_u32_e64 v15, s0, 0, v6, s0
	v_cmp_ne_u32_e64 s0, 0, v8
	v_fmac_f16_e32 v21, v65, v0
	v_and_or_b32 v3, 0x1ff, v4, v3
	v_and_or_b32 v1, 0x8000, v19, v1
	v_mul_f16_sdwa v0, v65, v0 dst_sel:DWORD dst_unused:UNUSED_PAD src0_sel:WORD_1 src1_sel:DWORD
	v_cndmask_b32_e64 v8, 0, 1, s0
	v_cmp_ne_u32_e64 s0, v12, v20
	v_cvt_f32_f16_e32 v7, v21
	v_and_b32_e32 v1, 0xffff, v1
	v_fma_f16 v0, v65, v16, -v0
	v_lshl_or_b32 v8, v8, 9, 0x7c00
	v_cndmask_b32_e64 v12, 0, 1, s0
	v_cmp_gt_i32_e64 s0, 31, v13
	v_cvt_f64_f32_e32 v[6:7], v7
	v_cvt_f32_f16_e32 v0, v0
	v_lshrrev_b32_e32 v21, 16, v2
	v_or_b32_e32 v12, v17, v12
	v_cndmask_b32_e64 v15, 0x7c00, v15, s0
	v_cmp_eq_u32_e64 s0, 0x40f, v13
	v_lshl_or_b32 v17, v18, 12, v14
	v_lshrrev_b32_e32 v13, 8, v4
	v_cndmask_b32_e64 v8, v15, v8, s0
	v_cmp_gt_i32_e64 s0, 1, v18
	v_bfe_u32 v15, v4, 20, 11
	v_and_or_b32 v8, 0x8000, v9, v8
	v_cndmask_b32_e64 v12, v17, v12, s0
	v_cmp_ne_u32_e64 s0, 0, v3
	v_lshl_or_b32 v16, v8, 16, v1
	v_and_b32_e32 v17, 7, v12
	v_cndmask_b32_e64 v3, 0, 1, s0
	v_mul_f64 v[6:7], v[6:7], s[4:5]
	v_lshrrev_b32_e32 v12, 2, v12
	v_cmp_lt_i32_e64 s0, 5, v17
	v_and_or_b32 v3, 0xffe, v13, v3
	v_sub_nc_u32_e32 v13, 0x3f1, v15
	v_cmp_eq_u32_e64 s1, 3, v17
	v_or_b32_e32 v9, 0x1000, v3
	v_med3_i32 v13, v13, 0, 13
	s_or_b32 s0, s1, s0
	v_add_co_ci_u32_e64 v12, s0, 0, v12, s0
	v_lshrrev_b32_e32 v17, v13, v9
	v_cmp_gt_i32_e64 s0, 31, v18
	v_lshlrev_b32_e32 v1, v13, v17
	v_cndmask_b32_e64 v8, 0x7c00, v12, s0
	v_and_or_b32 v6, 0x1ff, v7, v6
	v_add_nc_u32_e32 v12, 0xfffffc10, v15
	v_lshrrev_b32_e32 v13, 8, v7
	v_cmp_ne_u32_e64 s0, v1, v9
	v_cvt_f64_f32_e32 v[0:1], v0
	v_bfe_u32 v15, v7, 20, 11
	v_cndmask_b32_e64 v9, 0, 1, s0
	v_cmp_ne_u32_e64 s0, 0, v6
	v_or_b32_e32 v9, v17, v9
	v_cndmask_b32_e64 v6, 0, 1, s0
	v_cmp_ne_u32_e64 s0, 0, v14
	v_lshl_or_b32 v17, v12, 12, v3
	v_and_or_b32 v13, 0xffe, v13, v6
	v_cndmask_b32_e64 v14, 0, 1, s0
	v_sub_nc_u32_e32 v6, 0x3f1, v15
	v_cmp_gt_i32_e64 s0, 1, v12
	v_lshl_or_b32 v14, v14, 9, 0x7c00
	v_med3_i32 v19, v6, 0, 13
	v_cndmask_b32_e64 v9, v17, v9, s0
	v_or_b32_e32 v17, 0x1000, v13
	v_cmp_eq_u32_e64 s0, 0x40f, v18
	v_mul_f64 v[0:1], v[0:1], s[4:5]
	v_and_b32_e32 v18, 7, v9
	v_lshrrev_b32_e32 v20, v19, v17
	v_cndmask_b32_e64 v8, v8, v14, s0
	v_lshrrev_b32_e32 v14, 16, v5
	v_add_co_u32 v5, s0, v10, s6
	v_add_co_ci_u32_e64 v6, s0, s7, v11, s0
	v_mul_f16_sdwa v10, v64, v21 dst_sel:DWORD dst_unused:UNUSED_PAD src0_sel:WORD_1 src1_sel:DWORD
	v_and_or_b32 v11, 0x8000, v14, v8
	v_lshlrev_b32_e32 v8, v19, v20
	v_cmp_lt_i32_e64 s0, 5, v18
	v_cmp_eq_u32_e64 s1, 3, v18
	v_lshrrev_b32_e32 v9, 2, v9
	v_fmac_f16_e32 v10, v64, v2
	v_cmp_ne_u32_e64 s2, v8, v17
	v_add_nc_u32_e32 v14, 0xfffffc10, v15
	s_or_b32 s0, s1, s0
	v_and_b32_e32 v11, 0xffff, v11
	v_add_co_ci_u32_e64 v15, s0, 0, v9, s0
	v_cndmask_b32_e64 v8, 0, 1, s2
	v_cvt_f32_f16_e32 v10, v10
	v_cmp_ne_u32_e64 s0, 0, v3
	v_and_or_b32 v0, 0x1ff, v1, v0
	v_bfe_u32 v18, v1, 20, 11
	v_or_b32_e32 v17, v20, v8
	v_cvt_f64_f32_e32 v[8:9], v10
	v_lshl_or_b32 v10, v14, 12, v13
	v_cndmask_b32_e64 v3, 0, 1, s0
	v_cmp_gt_i32_e64 s0, 1, v14
	v_mul_f16_sdwa v2, v64, v2 dst_sel:DWORD dst_unused:UNUSED_PAD src0_sel:WORD_1 src1_sel:DWORD
	v_lshl_or_b32 v3, v3, 9, 0x7c00
	v_cndmask_b32_e64 v10, v10, v17, s0
	v_cmp_ne_u32_e64 s0, 0, v0
	v_lshrrev_b32_e32 v17, 8, v1
	v_fma_f16 v2, v64, v21, -v2
	v_and_b32_e32 v19, 7, v10
	v_cndmask_b32_e64 v0, 0, 1, s0
	v_cmp_gt_i32_e64 s0, 31, v12
	v_lshrrev_b32_e32 v10, 2, v10
	v_cvt_f32_f16_e32 v2, v2
	v_cmp_eq_u32_e64 s1, 3, v19
	v_and_or_b32 v0, 0xffe, v17, v0
	v_cndmask_b32_e64 v15, 0x7c00, v15, s0
	v_cmp_eq_u32_e64 s0, 0x40f, v12
	v_lshrrev_b32_e32 v17, 16, v4
	v_or_b32_e32 v20, 0x1000, v0
	v_cndmask_b32_e64 v12, v15, v3, s0
	v_sub_nc_u32_e32 v15, 0x3f1, v18
	v_cmp_lt_i32_e64 s0, 5, v19
	v_mul_f64 v[3:4], v[8:9], s[4:5]
	v_and_or_b32 v9, 0x8000, v17, v12
	v_med3_i32 v8, v15, 0, 13
	s_or_b32 s0, s1, s0
	v_add_nc_u32_e32 v15, 0xfffffc10, v18
	v_add_co_ci_u32_e64 v10, s0, 0, v10, s0
	v_lshrrev_b32_e32 v12, v8, v20
	v_cmp_ne_u32_e64 s0, 0, v13
	v_lshl_or_b32 v11, v9, 16, v11
	v_lshrrev_b32_e32 v18, 16, v7
	v_lshlrev_b32_e32 v8, v8, v12
	v_cndmask_b32_e64 v13, 0, 1, s0
	v_cmp_gt_i32_e64 s0, 31, v14
	v_cndmask_b32_e64 v9, 0x7c00, v10, s0
	v_cmp_ne_u32_e64 s0, v8, v20
	v_lshl_or_b32 v10, v13, 9, 0x7c00
	ds_read_b32 v13, v62 offset:3168
	v_and_or_b32 v3, 0x1ff, v4, v3
	v_bfe_u32 v17, v4, 20, 11
	v_cndmask_b32_e64 v8, 0, 1, s0
	v_cmp_eq_u32_e64 s0, 0x40f, v14
	v_lshrrev_b32_e32 v14, 8, v4
	v_lshrrev_b32_e32 v4, 16, v4
	v_or_b32_e32 v8, v12, v8
	v_cndmask_b32_e64 v9, v9, v10, s0
	v_cmp_ne_u32_e64 s0, 0, v3
	v_lshl_or_b32 v10, v15, 12, v0
	v_cvt_f64_f32_e32 v[2:3], v2
	v_and_or_b32 v18, 0x8000, v18, v9
	v_cndmask_b32_e64 v12, 0, 1, s0
	v_cmp_gt_i32_e64 s0, 1, v15
	v_and_or_b32 v12, 0xffe, v14, v12
	v_cndmask_b32_e64 v10, v10, v8, s0
	v_sub_nc_u32_e32 v8, 0x3f1, v17
	s_waitcnt lgkmcnt(0)
	v_lshrrev_b32_e32 v14, 16, v13
	v_add_co_u32 v7, s0, v5, s6
	v_or_b32_e32 v20, 0x1000, v12
	v_med3_i32 v21, v8, 0, 13
	v_and_b32_e32 v19, 7, v10
	v_mul_f16_sdwa v22, v63, v14 dst_sel:DWORD dst_unused:UNUSED_PAD src0_sel:WORD_1 src1_sel:DWORD
	v_add_co_ci_u32_e64 v8, s0, s7, v6, s0
	v_lshrrev_b32_e32 v23, v21, v20
	v_cmp_lt_i32_e64 s0, 5, v19
	v_fmac_f16_e32 v22, v63, v13
	v_cmp_eq_u32_e64 s1, 3, v19
	v_lshrrev_b32_e32 v9, 2, v10
	v_lshlrev_b32_e32 v19, v21, v23
	v_mul_f64 v[2:3], v[2:3], s[4:5]
	v_cvt_f32_f16_e32 v10, v22
	s_or_b32 s0, s1, s0
	v_add_nc_u32_e32 v17, 0xfffffc10, v17
	v_add_co_ci_u32_e64 v21, s0, 0, v9, s0
	v_cmp_ne_u32_e64 s0, v19, v20
	v_cvt_f64_f32_e32 v[9:10], v10
	v_mul_f16_sdwa v13, v63, v13 dst_sel:DWORD dst_unused:UNUSED_PAD src0_sel:WORD_1 src1_sel:DWORD
	v_lshl_or_b32 v20, v17, 12, v12
	v_cndmask_b32_e64 v19, 0, 1, s0
	v_cmp_ne_u32_e64 s0, 0, v0
	v_fma_f16 v13, v63, v14, -v13
	v_or_b32_e32 v19, v23, v19
	v_cndmask_b32_e64 v0, 0, 1, s0
	v_cmp_gt_i32_e64 s0, 31, v15
	v_cvt_f32_f16_e32 v13, v13
	v_lshl_or_b32 v0, v0, 9, 0x7c00
	v_cndmask_b32_e64 v14, 0x7c00, v21, s0
	v_cmp_gt_i32_e64 s0, 1, v17
	v_and_or_b32 v2, 0x1ff, v3, v2
	v_bfe_u32 v21, v3, 20, 11
	v_cndmask_b32_e64 v19, v20, v19, s0
	v_cmp_eq_u32_e64 s0, 0x40f, v15
	v_mul_f64 v[9:10], v[9:10], s[4:5]
	v_lshrrev_b32_e32 v15, 16, v1
	v_lshrrev_b32_e32 v20, 8, v3
	;; [unrolled: 1-line block ×3, first 2 shown]
	v_cndmask_b32_e64 v14, v14, v0, s0
	v_cvt_f64_f32_e32 v[0:1], v13
	v_cmp_ne_u32_e64 s0, 0, v2
	v_and_b32_e32 v13, 7, v19
	v_and_or_b32 v14, 0x8000, v15, v14
	v_and_b32_e32 v15, 0xffff, v18
	v_cndmask_b32_e64 v2, 0, 1, s0
	v_cmp_lt_i32_e64 s0, 5, v13
	v_cmp_eq_u32_e64 s1, 3, v13
	v_sub_nc_u32_e32 v18, 0x3f1, v21
	v_lshl_or_b32 v13, v14, 16, v15
	v_lshrrev_b32_e32 v14, 2, v19
	v_and_or_b32 v2, 0xffe, v20, v2
	s_or_b32 s0, s1, s0
	v_med3_i32 v18, v18, 0, 13
	v_add_co_ci_u32_e64 v14, s0, 0, v14, s0
	v_or_b32_e32 v15, 0x1000, v2
	v_cmp_ne_u32_e64 s0, 0, v12
	v_and_or_b32 v9, 0x1ff, v10, v9
	v_lshrrev_b32_e32 v20, 8, v10
	v_mul_f64 v[0:1], v[0:1], s[4:5]
	v_lshrrev_b32_e32 v19, v18, v15
	v_cndmask_b32_e64 v12, 0, 1, s0
	v_cmp_gt_i32_e64 s0, 31, v17
	v_bfe_u32 v22, v10, 20, 11
	v_lshrrev_b32_e32 v10, 16, v10
	v_lshlrev_b32_e32 v18, v18, v19
	v_lshl_or_b32 v12, v12, 9, 0x7c00
	v_cndmask_b32_e64 v14, 0x7c00, v14, s0
	v_cmp_ne_u32_e64 s0, 0, v9
	v_cndmask_b32_e64 v9, 0, 1, s0
	v_cmp_ne_u32_e64 s0, v18, v15
	v_add_nc_u32_e32 v18, 0xfffffc10, v21
	v_and_or_b32 v9, 0xffe, v20, v9
	v_cndmask_b32_e64 v15, 0, 1, s0
	v_sub_nc_u32_e32 v20, 0x3f1, v22
	v_cmp_eq_u32_e64 s0, 0x40f, v17
	v_and_or_b32 v0, 0x1ff, v1, v0
	v_or_b32_e32 v17, 0x1000, v9
	v_bfe_u32 v21, v1, 20, 11
	v_cndmask_b32_e64 v12, v14, v12, s0
	v_or_b32_e32 v14, v19, v15
	v_lshl_or_b32 v15, v18, 12, v2
	v_med3_i32 v19, v20, 0, 13
	v_cmp_gt_i32_e64 s0, 1, v18
	v_lshrrev_b32_e32 v20, 8, v1
	v_and_or_b32 v4, 0x8000, v4, v12
	v_sub_nc_u32_e32 v12, 0x3f1, v21
	v_lshrrev_b32_e32 v1, 16, v1
	v_cndmask_b32_e64 v14, v15, v14, s0
	v_lshrrev_b32_e32 v15, v19, v17
	v_cmp_ne_u32_e64 s0, 0, v0
	v_med3_i32 v12, v12, 0, 13
	v_and_b32_e32 v4, 0xffff, v4
	v_and_b32_e32 v23, 7, v14
	v_lshlrev_b32_e32 v19, v19, v15
	v_cndmask_b32_e64 v0, 0, 1, s0
	v_lshrrev_b32_e32 v14, 2, v14
	v_cmp_lt_i32_e64 s0, 5, v23
	v_cmp_ne_u32_e64 s1, v19, v17
	v_and_or_b32 v0, 0xffe, v20, v0
	v_add_nc_u32_e32 v20, 0xfffffc10, v22
	v_cndmask_b32_e64 v17, 0, 1, s1
	v_cmp_eq_u32_e64 s1, 3, v23
	v_or_b32_e32 v19, 0x1000, v0
	v_lshl_or_b32 v22, v20, 12, v9
	v_or_b32_e32 v15, v15, v17
	s_or_b32 s0, s1, s0
	v_lshrrev_b32_e32 v17, v12, v19
	v_add_co_ci_u32_e64 v14, s0, 0, v14, s0
	v_cmp_gt_i32_e64 s0, 1, v20
	v_lshlrev_b32_e32 v12, v12, v17
	v_cndmask_b32_e64 v15, v22, v15, s0
	v_cmp_ne_u32_e64 s0, 0, v2
	v_cndmask_b32_e64 v2, 0, 1, s0
	v_cmp_ne_u32_e64 s0, v12, v19
	v_add_nc_u32_e32 v19, 0xfffffc10, v21
	v_and_b32_e32 v21, 7, v15
	v_lshl_or_b32 v2, v2, 9, 0x7c00
	v_cndmask_b32_e64 v12, 0, 1, s0
	v_cmp_gt_i32_e64 s0, 31, v18
	v_cmp_gt_i32_e64 s2, 1, v19
	v_cmp_eq_u32_e64 s1, 3, v21
	v_or_b32_e32 v12, v17, v12
	v_lshl_or_b32 v17, v19, 12, v0
	v_cndmask_b32_e64 v14, 0x7c00, v14, s0
	v_cmp_lt_i32_e64 s0, 5, v21
	v_cndmask_b32_e64 v12, v17, v12, s2
	v_cmp_eq_u32_e64 s2, 0x40f, v18
	s_or_b32 s0, s1, s0
	v_cndmask_b32_e64 v2, v14, v2, s2
	v_lshrrev_b32_e32 v14, 2, v15
	v_and_b32_e32 v15, 7, v12
	v_lshrrev_b32_e32 v12, 2, v12
	v_cmp_gt_i32_e64 s2, 31, v20
	v_add_co_ci_u32_e64 v14, s0, 0, v14, s0
	v_cmp_ne_u32_e64 s0, 0, v9
	v_cmp_eq_u32_e64 s1, 3, v15
	v_cndmask_b32_e64 v14, 0x7c00, v14, s2
	v_cndmask_b32_e64 v9, 0, 1, s0
	v_cmp_lt_i32_e64 s0, 5, v15
	v_lshl_or_b32 v9, v9, 9, 0x7c00
	s_or_b32 s0, s1, s0
	v_add_co_ci_u32_e64 v12, s0, 0, v12, s0
	v_cmp_ne_u32_e64 s0, 0, v0
	v_cndmask_b32_e64 v0, 0, 1, s0
	v_cmp_eq_u32_e64 s0, 0x40f, v20
	v_lshl_or_b32 v0, v0, 9, 0x7c00
	v_cndmask_b32_e64 v9, v14, v9, s0
	v_cmp_gt_i32_e64 s0, 31, v19
	v_and_or_b32 v14, 0x8000, v3, v2
	v_and_or_b32 v9, 0x8000, v10, v9
	v_cndmask_b32_e64 v12, 0x7c00, v12, s0
	v_cmp_eq_u32_e64 s0, 0x40f, v19
	v_lshl_or_b32 v4, v14, 16, v4
	v_cndmask_b32_e64 v0, v12, v0, s0
	v_add_co_u32 v2, s0, v7, s8
	v_add_co_ci_u32_e64 v3, s0, s9, v8, s0
	v_and_or_b32 v0, 0x8000, v1, v0
	v_and_b32_e32 v1, 0xffff, v9
	v_add_co_u32 v9, s0, v2, s6
	v_add_co_ci_u32_e64 v10, s0, s7, v3, s0
	v_lshl_or_b32 v12, v0, 16, v1
	v_add_co_u32 v0, s0, v9, s6
	v_add_co_ci_u32_e64 v1, s0, s7, v10, s0
	global_store_dword v[5:6], v16, off
	global_store_dword v[7:8], v11, off
	global_store_dword v[2:3], v13, off
	global_store_dword v[9:10], v4, off
	global_store_dword v[0:1], v12, off
	s_and_b32 exec_lo, exec_lo, vcc_lo
	s_cbranch_execz .LBB0_31
; %bb.30:
	global_load_dword v2, v[29:30], off offset:1080
	ds_read_b32 v3, v62 offset:1080
	ds_read_b32 v6, v62 offset:2232
	;; [unrolled: 1-line block ×3, first 2 shown]
	s_waitcnt lgkmcnt(2)
	v_lshrrev_b32_e32 v4, 16, v3
	s_waitcnt vmcnt(0)
	v_mul_f16_sdwa v5, v4, v2 dst_sel:DWORD dst_unused:UNUSED_PAD src0_sel:DWORD src1_sel:WORD_1
	v_mul_f16_sdwa v8, v3, v2 dst_sel:DWORD dst_unused:UNUSED_PAD src0_sel:DWORD src1_sel:WORD_1
	v_fmac_f16_e32 v5, v3, v2
	v_fma_f16 v2, v2, v4, -v8
	v_cvt_f32_f16_e32 v3, v5
	v_cvt_f32_f16_e32 v4, v2
	v_cvt_f64_f32_e32 v[2:3], v3
	v_cvt_f64_f32_e32 v[4:5], v4
	v_mul_f64 v[2:3], v[2:3], s[4:5]
	v_mul_f64 v[4:5], v[4:5], s[4:5]
	v_and_or_b32 v2, 0x1ff, v3, v2
	v_and_or_b32 v4, 0x1ff, v5, v4
	v_lshrrev_b32_e32 v8, 8, v3
	v_bfe_u32 v9, v3, 20, 11
	v_lshrrev_b32_e32 v10, 8, v5
	v_cmp_ne_u32_e32 vcc_lo, 0, v2
	v_bfe_u32 v11, v5, 20, 11
	v_lshrrev_b32_e32 v3, 16, v3
	v_sub_nc_u32_e32 v12, 0x3f1, v9
	v_add_nc_u32_e32 v9, 0xfffffc10, v9
	v_cndmask_b32_e64 v2, 0, 1, vcc_lo
	v_cmp_ne_u32_e32 vcc_lo, 0, v4
	v_lshrrev_b32_e32 v5, 16, v5
	v_and_or_b32 v2, 0xffe, v8, v2
	v_cndmask_b32_e64 v4, 0, 1, vcc_lo
	v_sub_nc_u32_e32 v8, 0x3f1, v11
	v_add_nc_u32_e32 v11, 0xfffffc10, v11
	v_and_or_b32 v4, 0xffe, v10, v4
	v_med3_i32 v10, v12, 0, 13
	v_or_b32_e32 v12, 0x1000, v2
	v_med3_i32 v8, v8, 0, 13
	v_or_b32_e32 v13, 0x1000, v4
	v_lshrrev_b32_e32 v14, v10, v12
	v_lshrrev_b32_e32 v15, v8, v13
	v_lshlrev_b32_e32 v10, v10, v14
	v_lshlrev_b32_e32 v8, v8, v15
	v_cmp_ne_u32_e32 vcc_lo, v10, v12
	v_lshl_or_b32 v12, v9, 12, v2
	v_cndmask_b32_e64 v10, 0, 1, vcc_lo
	v_cmp_ne_u32_e32 vcc_lo, v8, v13
	v_lshl_or_b32 v13, v11, 12, v4
	v_or_b32_e32 v10, v14, v10
	v_cndmask_b32_e64 v8, 0, 1, vcc_lo
	v_cmp_gt_i32_e32 vcc_lo, 1, v9
	v_or_b32_e32 v8, v15, v8
	v_cndmask_b32_e32 v10, v12, v10, vcc_lo
	v_cmp_gt_i32_e32 vcc_lo, 1, v11
	v_and_b32_e32 v12, 7, v10
	v_cndmask_b32_e32 v8, v13, v8, vcc_lo
	v_cmp_ne_u32_e32 vcc_lo, 0, v2
	v_lshrrev_b32_e32 v10, 2, v10
	v_cmp_eq_u32_e64 s0, 3, v12
	v_and_b32_e32 v13, 7, v8
	v_cndmask_b32_e64 v2, 0, 1, vcc_lo
	v_cmp_ne_u32_e32 vcc_lo, 0, v4
	v_lshrrev_b32_e32 v8, 2, v8
	v_cmp_lt_i32_e64 s1, 5, v13
	v_cmp_eq_u32_e64 s2, 3, v13
	v_cndmask_b32_e64 v4, 0, 1, vcc_lo
	v_cmp_lt_i32_e32 vcc_lo, 5, v12
	v_lshl_or_b32 v2, v2, 9, 0x7c00
	v_lshl_or_b32 v4, v4, 9, 0x7c00
	s_or_b32 vcc_lo, s0, vcc_lo
	v_add_co_ci_u32_e32 v10, vcc_lo, 0, v10, vcc_lo
	s_or_b32 vcc_lo, s2, s1
	v_add_co_ci_u32_e32 v8, vcc_lo, 0, v8, vcc_lo
	v_cmp_gt_i32_e32 vcc_lo, 31, v9
	v_cndmask_b32_e32 v10, 0x7c00, v10, vcc_lo
	v_cmp_gt_i32_e32 vcc_lo, 31, v11
	v_cndmask_b32_e32 v8, 0x7c00, v8, vcc_lo
	v_cmp_eq_u32_e32 vcc_lo, 0x40f, v9
	v_cndmask_b32_e32 v2, v10, v2, vcc_lo
	v_cmp_eq_u32_e32 vcc_lo, 0x40f, v11
	v_and_or_b32 v2, 0x8000, v3, v2
	v_cndmask_b32_e32 v4, v8, v4, vcc_lo
	v_add_co_u32 v0, vcc_lo, v0, s8
	v_add_co_ci_u32_e32 v1, vcc_lo, s9, v1, vcc_lo
	v_and_or_b32 v3, 0x8000, v5, v4
	v_and_b32_e32 v2, 0xffff, v2
	v_lshl_or_b32 v2, v3, 16, v2
	s_waitcnt lgkmcnt(1)
	v_lshrrev_b32_e32 v3, 16, v6
	global_store_dword v[0:1], v2, off
	global_load_dword v2, v[27:28], off offset:184
	s_waitcnt vmcnt(0)
	v_mul_f16_sdwa v4, v3, v2 dst_sel:DWORD dst_unused:UNUSED_PAD src0_sel:DWORD src1_sel:WORD_1
	v_mul_f16_sdwa v5, v6, v2 dst_sel:DWORD dst_unused:UNUSED_PAD src0_sel:DWORD src1_sel:WORD_1
	v_fmac_f16_e32 v4, v6, v2
	v_fma_f16 v2, v2, v3, -v5
	v_cvt_f32_f16_e32 v3, v4
	v_cvt_f32_f16_e32 v4, v2
	v_cvt_f64_f32_e32 v[2:3], v3
	v_cvt_f64_f32_e32 v[4:5], v4
	v_mul_f64 v[2:3], v[2:3], s[4:5]
	v_mul_f64 v[4:5], v[4:5], s[4:5]
	v_and_or_b32 v2, 0x1ff, v3, v2
	v_and_or_b32 v4, 0x1ff, v5, v4
	v_lshrrev_b32_e32 v6, 8, v3
	v_bfe_u32 v8, v3, 20, 11
	v_lshrrev_b32_e32 v9, 8, v5
	v_cmp_ne_u32_e32 vcc_lo, 0, v2
	v_bfe_u32 v10, v5, 20, 11
	v_lshrrev_b32_e32 v3, 16, v3
	v_sub_nc_u32_e32 v11, 0x3f1, v8
	v_add_nc_u32_e32 v8, 0xfffffc10, v8
	v_cndmask_b32_e64 v2, 0, 1, vcc_lo
	v_cmp_ne_u32_e32 vcc_lo, 0, v4
	v_lshrrev_b32_e32 v5, 16, v5
	v_and_or_b32 v2, 0xffe, v6, v2
	v_cndmask_b32_e64 v4, 0, 1, vcc_lo
	v_sub_nc_u32_e32 v6, 0x3f1, v10
	v_add_nc_u32_e32 v10, 0xfffffc10, v10
	v_and_or_b32 v4, 0xffe, v9, v4
	v_med3_i32 v9, v11, 0, 13
	v_or_b32_e32 v11, 0x1000, v2
	v_med3_i32 v6, v6, 0, 13
	v_or_b32_e32 v12, 0x1000, v4
	v_lshrrev_b32_e32 v13, v9, v11
	v_lshrrev_b32_e32 v14, v6, v12
	v_lshlrev_b32_e32 v9, v9, v13
	v_lshlrev_b32_e32 v6, v6, v14
	v_cmp_ne_u32_e32 vcc_lo, v9, v11
	v_lshl_or_b32 v11, v8, 12, v2
	v_cndmask_b32_e64 v9, 0, 1, vcc_lo
	v_cmp_ne_u32_e32 vcc_lo, v6, v12
	v_lshl_or_b32 v12, v10, 12, v4
	v_or_b32_e32 v9, v13, v9
	v_cndmask_b32_e64 v6, 0, 1, vcc_lo
	v_cmp_gt_i32_e32 vcc_lo, 1, v8
	v_or_b32_e32 v6, v14, v6
	v_cndmask_b32_e32 v9, v11, v9, vcc_lo
	v_cmp_gt_i32_e32 vcc_lo, 1, v10
	v_and_b32_e32 v11, 7, v9
	v_cndmask_b32_e32 v6, v12, v6, vcc_lo
	v_cmp_ne_u32_e32 vcc_lo, 0, v2
	v_lshrrev_b32_e32 v9, 2, v9
	v_cmp_eq_u32_e64 s0, 3, v11
	v_and_b32_e32 v12, 7, v6
	v_cndmask_b32_e64 v2, 0, 1, vcc_lo
	v_cmp_ne_u32_e32 vcc_lo, 0, v4
	v_lshrrev_b32_e32 v6, 2, v6
	v_cmp_lt_i32_e64 s1, 5, v12
	v_cmp_eq_u32_e64 s2, 3, v12
	v_cndmask_b32_e64 v4, 0, 1, vcc_lo
	v_cmp_lt_i32_e32 vcc_lo, 5, v11
	v_lshl_or_b32 v2, v2, 9, 0x7c00
	v_lshl_or_b32 v4, v4, 9, 0x7c00
	s_or_b32 vcc_lo, s0, vcc_lo
	v_add_co_ci_u32_e32 v9, vcc_lo, 0, v9, vcc_lo
	s_or_b32 vcc_lo, s2, s1
	v_add_co_ci_u32_e32 v6, vcc_lo, 0, v6, vcc_lo
	v_cmp_gt_i32_e32 vcc_lo, 31, v8
	v_cndmask_b32_e32 v9, 0x7c00, v9, vcc_lo
	v_cmp_gt_i32_e32 vcc_lo, 31, v10
	v_cndmask_b32_e32 v6, 0x7c00, v6, vcc_lo
	v_cmp_eq_u32_e32 vcc_lo, 0x40f, v8
	v_cndmask_b32_e32 v2, v9, v2, vcc_lo
	v_cmp_eq_u32_e32 vcc_lo, 0x40f, v10
	v_and_or_b32 v2, 0x8000, v3, v2
	v_cndmask_b32_e32 v4, v6, v4, vcc_lo
	v_add_co_u32 v0, vcc_lo, v0, s6
	v_add_co_ci_u32_e32 v1, vcc_lo, s7, v1, vcc_lo
	v_and_or_b32 v3, 0x8000, v5, v4
	v_and_b32_e32 v2, 0xffff, v2
	v_lshl_or_b32 v2, v3, 16, v2
	s_waitcnt lgkmcnt(0)
	v_lshrrev_b32_e32 v3, 16, v7
	global_store_dword v[0:1], v2, off
	global_load_dword v2, v[27:28], off offset:1336
	s_waitcnt vmcnt(0)
	v_mul_f16_sdwa v4, v3, v2 dst_sel:DWORD dst_unused:UNUSED_PAD src0_sel:DWORD src1_sel:WORD_1
	v_mul_f16_sdwa v5, v7, v2 dst_sel:DWORD dst_unused:UNUSED_PAD src0_sel:DWORD src1_sel:WORD_1
	v_fmac_f16_e32 v4, v7, v2
	v_fma_f16 v2, v2, v3, -v5
	v_cvt_f32_f16_e32 v3, v4
	v_cvt_f32_f16_e32 v4, v2
	v_cvt_f64_f32_e32 v[2:3], v3
	v_cvt_f64_f32_e32 v[4:5], v4
	v_mul_f64 v[2:3], v[2:3], s[4:5]
	v_mul_f64 v[4:5], v[4:5], s[4:5]
	v_and_or_b32 v2, 0x1ff, v3, v2
	v_and_or_b32 v4, 0x1ff, v5, v4
	v_lshrrev_b32_e32 v6, 8, v3
	v_bfe_u32 v7, v3, 20, 11
	v_lshrrev_b32_e32 v8, 8, v5
	v_cmp_ne_u32_e32 vcc_lo, 0, v2
	v_bfe_u32 v9, v5, 20, 11
	v_lshrrev_b32_e32 v3, 16, v3
	v_sub_nc_u32_e32 v10, 0x3f1, v7
	v_add_nc_u32_e32 v7, 0xfffffc10, v7
	v_cndmask_b32_e64 v2, 0, 1, vcc_lo
	v_cmp_ne_u32_e32 vcc_lo, 0, v4
	v_lshrrev_b32_e32 v5, 16, v5
	v_and_or_b32 v2, 0xffe, v6, v2
	v_cndmask_b32_e64 v4, 0, 1, vcc_lo
	v_sub_nc_u32_e32 v6, 0x3f1, v9
	v_add_nc_u32_e32 v9, 0xfffffc10, v9
	v_and_or_b32 v4, 0xffe, v8, v4
	v_med3_i32 v8, v10, 0, 13
	v_or_b32_e32 v10, 0x1000, v2
	v_med3_i32 v6, v6, 0, 13
	v_or_b32_e32 v11, 0x1000, v4
	v_lshrrev_b32_e32 v12, v8, v10
	v_lshrrev_b32_e32 v13, v6, v11
	v_lshlrev_b32_e32 v8, v8, v12
	v_lshlrev_b32_e32 v6, v6, v13
	v_cmp_ne_u32_e32 vcc_lo, v8, v10
	v_lshl_or_b32 v10, v7, 12, v2
	v_cndmask_b32_e64 v8, 0, 1, vcc_lo
	v_cmp_ne_u32_e32 vcc_lo, v6, v11
	v_lshl_or_b32 v11, v9, 12, v4
	v_or_b32_e32 v8, v12, v8
	v_cndmask_b32_e64 v6, 0, 1, vcc_lo
	v_cmp_gt_i32_e32 vcc_lo, 1, v7
	v_or_b32_e32 v6, v13, v6
	v_cndmask_b32_e32 v8, v10, v8, vcc_lo
	v_cmp_gt_i32_e32 vcc_lo, 1, v9
	v_and_b32_e32 v10, 7, v8
	v_cndmask_b32_e32 v6, v11, v6, vcc_lo
	v_cmp_ne_u32_e32 vcc_lo, 0, v2
	v_lshrrev_b32_e32 v8, 2, v8
	v_cmp_eq_u32_e64 s0, 3, v10
	v_and_b32_e32 v11, 7, v6
	v_cndmask_b32_e64 v2, 0, 1, vcc_lo
	v_cmp_ne_u32_e32 vcc_lo, 0, v4
	v_lshrrev_b32_e32 v6, 2, v6
	v_cmp_lt_i32_e64 s1, 5, v11
	v_cmp_eq_u32_e64 s2, 3, v11
	v_cndmask_b32_e64 v4, 0, 1, vcc_lo
	v_cmp_lt_i32_e32 vcc_lo, 5, v10
	v_lshl_or_b32 v2, v2, 9, 0x7c00
	v_lshl_or_b32 v4, v4, 9, 0x7c00
	s_or_b32 vcc_lo, s0, vcc_lo
	v_add_co_ci_u32_e32 v8, vcc_lo, 0, v8, vcc_lo
	s_or_b32 vcc_lo, s2, s1
	v_add_co_ci_u32_e32 v6, vcc_lo, 0, v6, vcc_lo
	v_cmp_gt_i32_e32 vcc_lo, 31, v7
	v_cndmask_b32_e32 v8, 0x7c00, v8, vcc_lo
	v_cmp_gt_i32_e32 vcc_lo, 31, v9
	v_cndmask_b32_e32 v6, 0x7c00, v6, vcc_lo
	v_cmp_eq_u32_e32 vcc_lo, 0x40f, v7
	v_cndmask_b32_e32 v2, v8, v2, vcc_lo
	v_cmp_eq_u32_e32 vcc_lo, 0x40f, v9
	v_and_or_b32 v2, 0x8000, v3, v2
	v_cndmask_b32_e32 v4, v6, v4, vcc_lo
	v_add_co_u32 v0, vcc_lo, v0, s6
	v_add_co_ci_u32_e32 v1, vcc_lo, s7, v1, vcc_lo
	v_and_or_b32 v3, 0x8000, v5, v4
	v_and_b32_e32 v2, 0xffff, v2
	v_lshl_or_b32 v2, v3, 16, v2
	global_store_dword v[0:1], v2, off
.LBB0_31:
	s_endpgm
	.section	.rodata,"a",@progbits
	.p2align	6, 0x0
	.amdhsa_kernel bluestein_single_fwd_len864_dim1_half_op_CI_CI
		.amdhsa_group_segment_fixed_size 3456
		.amdhsa_private_segment_fixed_size 0
		.amdhsa_kernarg_size 104
		.amdhsa_user_sgpr_count 6
		.amdhsa_user_sgpr_private_segment_buffer 1
		.amdhsa_user_sgpr_dispatch_ptr 0
		.amdhsa_user_sgpr_queue_ptr 0
		.amdhsa_user_sgpr_kernarg_segment_ptr 1
		.amdhsa_user_sgpr_dispatch_id 0
		.amdhsa_user_sgpr_flat_scratch_init 0
		.amdhsa_user_sgpr_private_segment_size 0
		.amdhsa_wavefront_size32 1
		.amdhsa_uses_dynamic_stack 0
		.amdhsa_system_sgpr_private_segment_wavefront_offset 0
		.amdhsa_system_sgpr_workgroup_id_x 1
		.amdhsa_system_sgpr_workgroup_id_y 0
		.amdhsa_system_sgpr_workgroup_id_z 0
		.amdhsa_system_sgpr_workgroup_info 0
		.amdhsa_system_vgpr_workitem_id 0
		.amdhsa_next_free_vgpr 142
		.amdhsa_next_free_sgpr 18
		.amdhsa_reserve_vcc 1
		.amdhsa_reserve_flat_scratch 0
		.amdhsa_float_round_mode_32 0
		.amdhsa_float_round_mode_16_64 0
		.amdhsa_float_denorm_mode_32 3
		.amdhsa_float_denorm_mode_16_64 3
		.amdhsa_dx10_clamp 1
		.amdhsa_ieee_mode 1
		.amdhsa_fp16_overflow 0
		.amdhsa_workgroup_processor_mode 1
		.amdhsa_memory_ordered 1
		.amdhsa_forward_progress 0
		.amdhsa_shared_vgpr_count 0
		.amdhsa_exception_fp_ieee_invalid_op 0
		.amdhsa_exception_fp_denorm_src 0
		.amdhsa_exception_fp_ieee_div_zero 0
		.amdhsa_exception_fp_ieee_overflow 0
		.amdhsa_exception_fp_ieee_underflow 0
		.amdhsa_exception_fp_ieee_inexact 0
		.amdhsa_exception_int_div_zero 0
	.end_amdhsa_kernel
	.text
.Lfunc_end0:
	.size	bluestein_single_fwd_len864_dim1_half_op_CI_CI, .Lfunc_end0-bluestein_single_fwd_len864_dim1_half_op_CI_CI
                                        ; -- End function
	.section	.AMDGPU.csdata,"",@progbits
; Kernel info:
; codeLenInByte = 26160
; NumSgprs: 20
; NumVgprs: 142
; ScratchSize: 0
; MemoryBound: 0
; FloatMode: 240
; IeeeMode: 1
; LDSByteSize: 3456 bytes/workgroup (compile time only)
; SGPRBlocks: 2
; VGPRBlocks: 17
; NumSGPRsForWavesPerEU: 20
; NumVGPRsForWavesPerEU: 142
; Occupancy: 7
; WaveLimiterHint : 1
; COMPUTE_PGM_RSRC2:SCRATCH_EN: 0
; COMPUTE_PGM_RSRC2:USER_SGPR: 6
; COMPUTE_PGM_RSRC2:TRAP_HANDLER: 0
; COMPUTE_PGM_RSRC2:TGID_X_EN: 1
; COMPUTE_PGM_RSRC2:TGID_Y_EN: 0
; COMPUTE_PGM_RSRC2:TGID_Z_EN: 0
; COMPUTE_PGM_RSRC2:TIDIG_COMP_CNT: 0
	.text
	.p2alignl 6, 3214868480
	.fill 48, 4, 3214868480
	.type	__hip_cuid_f8f51e22678a3d76,@object ; @__hip_cuid_f8f51e22678a3d76
	.section	.bss,"aw",@nobits
	.globl	__hip_cuid_f8f51e22678a3d76
__hip_cuid_f8f51e22678a3d76:
	.byte	0                               ; 0x0
	.size	__hip_cuid_f8f51e22678a3d76, 1

	.ident	"AMD clang version 19.0.0git (https://github.com/RadeonOpenCompute/llvm-project roc-6.4.0 25133 c7fe45cf4b819c5991fe208aaa96edf142730f1d)"
	.section	".note.GNU-stack","",@progbits
	.addrsig
	.addrsig_sym __hip_cuid_f8f51e22678a3d76
	.amdgpu_metadata
---
amdhsa.kernels:
  - .args:
      - .actual_access:  read_only
        .address_space:  global
        .offset:         0
        .size:           8
        .value_kind:     global_buffer
      - .actual_access:  read_only
        .address_space:  global
        .offset:         8
        .size:           8
        .value_kind:     global_buffer
      - .actual_access:  read_only
        .address_space:  global
        .offset:         16
        .size:           8
        .value_kind:     global_buffer
      - .actual_access:  read_only
        .address_space:  global
        .offset:         24
        .size:           8
        .value_kind:     global_buffer
      - .actual_access:  read_only
        .address_space:  global
        .offset:         32
        .size:           8
        .value_kind:     global_buffer
      - .offset:         40
        .size:           8
        .value_kind:     by_value
      - .address_space:  global
        .offset:         48
        .size:           8
        .value_kind:     global_buffer
      - .address_space:  global
        .offset:         56
        .size:           8
        .value_kind:     global_buffer
      - .address_space:  global
        .offset:         64
        .size:           8
        .value_kind:     global_buffer
      - .address_space:  global
        .offset:         72
        .size:           8
        .value_kind:     global_buffer
      - .offset:         80
        .size:           4
        .value_kind:     by_value
      - .address_space:  global
        .offset:         88
        .size:           8
        .value_kind:     global_buffer
      - .address_space:  global
        .offset:         96
        .size:           8
        .value_kind:     global_buffer
    .group_segment_fixed_size: 3456
    .kernarg_segment_align: 8
    .kernarg_segment_size: 104
    .language:       OpenCL C
    .language_version:
      - 2
      - 0
    .max_flat_workgroup_size: 54
    .name:           bluestein_single_fwd_len864_dim1_half_op_CI_CI
    .private_segment_fixed_size: 0
    .sgpr_count:     20
    .sgpr_spill_count: 0
    .symbol:         bluestein_single_fwd_len864_dim1_half_op_CI_CI.kd
    .uniform_work_group_size: 1
    .uses_dynamic_stack: false
    .vgpr_count:     142
    .vgpr_spill_count: 0
    .wavefront_size: 32
    .workgroup_processor_mode: 1
amdhsa.target:   amdgcn-amd-amdhsa--gfx1030
amdhsa.version:
  - 1
  - 2
...

	.end_amdgpu_metadata
